;; amdgpu-corpus repo=ROCm/rocFFT kind=compiled arch=gfx906 opt=O3
	.text
	.amdgcn_target "amdgcn-amd-amdhsa--gfx906"
	.amdhsa_code_object_version 6
	.protected	fft_rtc_back_len2560_factors_4_4_4_10_4_wgs_128_tpt_128_halfLds_half_op_CI_CI_unitstride_sbrr_C2R_dirReg ; -- Begin function fft_rtc_back_len2560_factors_4_4_4_10_4_wgs_128_tpt_128_halfLds_half_op_CI_CI_unitstride_sbrr_C2R_dirReg
	.globl	fft_rtc_back_len2560_factors_4_4_4_10_4_wgs_128_tpt_128_halfLds_half_op_CI_CI_unitstride_sbrr_C2R_dirReg
	.p2align	8
	.type	fft_rtc_back_len2560_factors_4_4_4_10_4_wgs_128_tpt_128_halfLds_half_op_CI_CI_unitstride_sbrr_C2R_dirReg,@function
fft_rtc_back_len2560_factors_4_4_4_10_4_wgs_128_tpt_128_halfLds_half_op_CI_CI_unitstride_sbrr_C2R_dirReg: ; @fft_rtc_back_len2560_factors_4_4_4_10_4_wgs_128_tpt_128_halfLds_half_op_CI_CI_unitstride_sbrr_C2R_dirReg
; %bb.0:
	s_load_dwordx4 s[12:15], s[4:5], 0x0
	s_load_dwordx4 s[8:11], s[4:5], 0x58
	;; [unrolled: 1-line block ×3, first 2 shown]
	v_mov_b32_e32 v8, 0
	v_mov_b32_e32 v6, 0
	s_waitcnt lgkmcnt(0)
	v_cmp_lt_u64_e64 s[0:1], s[14:15], 2
	v_mov_b32_e32 v10, s6
	v_mov_b32_e32 v11, v8
	s_and_b64 vcc, exec, s[0:1]
	v_mov_b32_e32 v7, 0
	s_cbranch_vccnz .LBB0_8
; %bb.1:
	s_load_dwordx2 s[0:1], s[4:5], 0x10
	s_add_u32 s2, s18, 8
	s_addc_u32 s3, s19, 0
	s_add_u32 s6, s16, 8
	s_addc_u32 s7, s17, 0
	v_mov_b32_e32 v6, 0
	s_waitcnt lgkmcnt(0)
	s_add_u32 s20, s0, 8
	v_mov_b32_e32 v7, 0
	v_mov_b32_e32 v1, v6
	s_addc_u32 s21, s1, 0
	s_mov_b64 s[22:23], 1
	v_mov_b32_e32 v2, v7
.LBB0_2:                                ; =>This Inner Loop Header: Depth=1
	s_load_dwordx2 s[24:25], s[20:21], 0x0
                                        ; implicit-def: $vgpr3_vgpr4
	s_waitcnt lgkmcnt(0)
	v_or_b32_e32 v9, s25, v11
	v_cmp_ne_u64_e32 vcc, 0, v[8:9]
	s_and_saveexec_b64 s[0:1], vcc
	s_xor_b64 s[26:27], exec, s[0:1]
	s_cbranch_execz .LBB0_4
; %bb.3:                                ;   in Loop: Header=BB0_2 Depth=1
	v_cvt_f32_u32_e32 v3, s24
	v_cvt_f32_u32_e32 v4, s25
	s_sub_u32 s0, 0, s24
	s_subb_u32 s1, 0, s25
	v_mac_f32_e32 v3, 0x4f800000, v4
	v_rcp_f32_e32 v3, v3
	v_mul_f32_e32 v3, 0x5f7ffffc, v3
	v_mul_f32_e32 v4, 0x2f800000, v3
	v_trunc_f32_e32 v4, v4
	v_mac_f32_e32 v3, 0xcf800000, v4
	v_cvt_u32_f32_e32 v4, v4
	v_cvt_u32_f32_e32 v3, v3
	v_mul_lo_u32 v5, s0, v4
	v_mul_hi_u32 v9, s0, v3
	v_mul_lo_u32 v13, s1, v3
	v_mul_lo_u32 v12, s0, v3
	v_add_u32_e32 v5, v9, v5
	v_add_u32_e32 v5, v5, v13
	v_mul_hi_u32 v9, v3, v12
	v_mul_lo_u32 v13, v3, v5
	v_mul_hi_u32 v15, v3, v5
	v_mul_hi_u32 v14, v4, v12
	v_mul_lo_u32 v12, v4, v12
	v_mul_hi_u32 v16, v4, v5
	v_add_co_u32_e32 v9, vcc, v9, v13
	v_addc_co_u32_e32 v13, vcc, 0, v15, vcc
	v_mul_lo_u32 v5, v4, v5
	v_add_co_u32_e32 v9, vcc, v9, v12
	v_addc_co_u32_e32 v9, vcc, v13, v14, vcc
	v_addc_co_u32_e32 v12, vcc, 0, v16, vcc
	v_add_co_u32_e32 v5, vcc, v9, v5
	v_addc_co_u32_e32 v9, vcc, 0, v12, vcc
	v_add_co_u32_e32 v3, vcc, v3, v5
	v_addc_co_u32_e32 v4, vcc, v4, v9, vcc
	v_mul_lo_u32 v5, s0, v4
	v_mul_hi_u32 v9, s0, v3
	v_mul_lo_u32 v12, s1, v3
	v_mul_lo_u32 v13, s0, v3
	v_add_u32_e32 v5, v9, v5
	v_add_u32_e32 v5, v5, v12
	v_mul_lo_u32 v14, v3, v5
	v_mul_hi_u32 v15, v3, v13
	v_mul_hi_u32 v16, v3, v5
	;; [unrolled: 1-line block ×3, first 2 shown]
	v_mul_lo_u32 v13, v4, v13
	v_mul_hi_u32 v9, v4, v5
	v_add_co_u32_e32 v14, vcc, v15, v14
	v_addc_co_u32_e32 v15, vcc, 0, v16, vcc
	v_mul_lo_u32 v5, v4, v5
	v_add_co_u32_e32 v13, vcc, v14, v13
	v_addc_co_u32_e32 v12, vcc, v15, v12, vcc
	v_addc_co_u32_e32 v9, vcc, 0, v9, vcc
	v_add_co_u32_e32 v5, vcc, v12, v5
	v_addc_co_u32_e32 v9, vcc, 0, v9, vcc
	v_add_co_u32_e32 v5, vcc, v3, v5
	v_addc_co_u32_e32 v9, vcc, v4, v9, vcc
	v_mad_u64_u32 v[3:4], s[0:1], v10, v9, 0
	v_mul_hi_u32 v12, v10, v5
	v_add_co_u32_e32 v14, vcc, v12, v3
	v_addc_co_u32_e32 v15, vcc, 0, v4, vcc
	v_mad_u64_u32 v[3:4], s[0:1], v11, v5, 0
	v_mad_u64_u32 v[12:13], s[0:1], v11, v9, 0
	v_add_co_u32_e32 v3, vcc, v14, v3
	v_addc_co_u32_e32 v3, vcc, v15, v4, vcc
	v_addc_co_u32_e32 v4, vcc, 0, v13, vcc
	v_add_co_u32_e32 v5, vcc, v3, v12
	v_addc_co_u32_e32 v9, vcc, 0, v4, vcc
	v_mul_lo_u32 v12, s25, v5
	v_mul_lo_u32 v13, s24, v9
	v_mad_u64_u32 v[3:4], s[0:1], s24, v5, 0
	v_add3_u32 v4, v4, v13, v12
	v_sub_u32_e32 v12, v11, v4
	v_mov_b32_e32 v13, s25
	v_sub_co_u32_e32 v3, vcc, v10, v3
	v_subb_co_u32_e64 v12, s[0:1], v12, v13, vcc
	v_subrev_co_u32_e64 v13, s[0:1], s24, v3
	v_subbrev_co_u32_e64 v12, s[0:1], 0, v12, s[0:1]
	v_cmp_le_u32_e64 s[0:1], s25, v12
	v_cndmask_b32_e64 v14, 0, -1, s[0:1]
	v_cmp_le_u32_e64 s[0:1], s24, v13
	v_cndmask_b32_e64 v13, 0, -1, s[0:1]
	v_cmp_eq_u32_e64 s[0:1], s25, v12
	v_cndmask_b32_e64 v12, v14, v13, s[0:1]
	v_add_co_u32_e64 v13, s[0:1], 2, v5
	v_addc_co_u32_e64 v14, s[0:1], 0, v9, s[0:1]
	v_add_co_u32_e64 v15, s[0:1], 1, v5
	v_addc_co_u32_e64 v16, s[0:1], 0, v9, s[0:1]
	v_subb_co_u32_e32 v4, vcc, v11, v4, vcc
	v_cmp_ne_u32_e64 s[0:1], 0, v12
	v_cmp_le_u32_e32 vcc, s25, v4
	v_cndmask_b32_e64 v12, v16, v14, s[0:1]
	v_cndmask_b32_e64 v14, 0, -1, vcc
	v_cmp_le_u32_e32 vcc, s24, v3
	v_cndmask_b32_e64 v3, 0, -1, vcc
	v_cmp_eq_u32_e32 vcc, s25, v4
	v_cndmask_b32_e32 v3, v14, v3, vcc
	v_cmp_ne_u32_e32 vcc, 0, v3
	v_cndmask_b32_e64 v3, v15, v13, s[0:1]
	v_cndmask_b32_e32 v4, v9, v12, vcc
	v_cndmask_b32_e32 v3, v5, v3, vcc
.LBB0_4:                                ;   in Loop: Header=BB0_2 Depth=1
	s_andn2_saveexec_b64 s[0:1], s[26:27]
	s_cbranch_execz .LBB0_6
; %bb.5:                                ;   in Loop: Header=BB0_2 Depth=1
	v_cvt_f32_u32_e32 v3, s24
	s_sub_i32 s26, 0, s24
	v_rcp_iflag_f32_e32 v3, v3
	v_mul_f32_e32 v3, 0x4f7ffffe, v3
	v_cvt_u32_f32_e32 v3, v3
	v_mul_lo_u32 v4, s26, v3
	v_mul_hi_u32 v4, v3, v4
	v_add_u32_e32 v3, v3, v4
	v_mul_hi_u32 v3, v10, v3
	v_mul_lo_u32 v4, v3, s24
	v_add_u32_e32 v5, 1, v3
	v_sub_u32_e32 v4, v10, v4
	v_subrev_u32_e32 v9, s24, v4
	v_cmp_le_u32_e32 vcc, s24, v4
	v_cndmask_b32_e32 v4, v4, v9, vcc
	v_cndmask_b32_e32 v3, v3, v5, vcc
	v_add_u32_e32 v5, 1, v3
	v_cmp_le_u32_e32 vcc, s24, v4
	v_cndmask_b32_e32 v3, v3, v5, vcc
	v_mov_b32_e32 v4, v8
.LBB0_6:                                ;   in Loop: Header=BB0_2 Depth=1
	s_or_b64 exec, exec, s[0:1]
	v_mul_lo_u32 v5, v4, s24
	v_mul_lo_u32 v9, v3, s25
	v_mad_u64_u32 v[12:13], s[0:1], v3, s24, 0
	s_load_dwordx2 s[0:1], s[6:7], 0x0
	s_load_dwordx2 s[24:25], s[2:3], 0x0
	v_add3_u32 v5, v13, v9, v5
	v_sub_co_u32_e32 v9, vcc, v10, v12
	v_subb_co_u32_e32 v5, vcc, v11, v5, vcc
	s_waitcnt lgkmcnt(0)
	v_mul_lo_u32 v10, s0, v5
	v_mul_lo_u32 v11, s1, v9
	v_mad_u64_u32 v[6:7], s[0:1], s0, v9, v[6:7]
	s_add_u32 s22, s22, 1
	s_addc_u32 s23, s23, 0
	s_add_u32 s2, s2, 8
	v_mul_lo_u32 v5, s24, v5
	v_mul_lo_u32 v12, s25, v9
	v_mad_u64_u32 v[1:2], s[0:1], s24, v9, v[1:2]
	v_add3_u32 v7, v11, v7, v10
	s_addc_u32 s3, s3, 0
	v_mov_b32_e32 v9, s14
	s_add_u32 s6, s6, 8
	v_mov_b32_e32 v10, s15
	s_addc_u32 s7, s7, 0
	v_cmp_ge_u64_e32 vcc, s[22:23], v[9:10]
	s_add_u32 s20, s20, 8
	v_add3_u32 v2, v12, v2, v5
	s_addc_u32 s21, s21, 0
	s_cbranch_vccnz .LBB0_9
; %bb.7:                                ;   in Loop: Header=BB0_2 Depth=1
	v_mov_b32_e32 v11, v4
	v_mov_b32_e32 v10, v3
	s_branch .LBB0_2
.LBB0_8:
	v_mov_b32_e32 v1, v6
	v_mov_b32_e32 v3, v10
	;; [unrolled: 1-line block ×4, first 2 shown]
.LBB0_9:
	s_load_dwordx2 s[4:5], s[4:5], 0x28
	s_lshl_b64 s[6:7], s[14:15], 3
	s_add_u32 s2, s18, s6
	s_addc_u32 s3, s19, s7
                                        ; implicit-def: $vgpr5
	s_waitcnt lgkmcnt(0)
	v_cmp_gt_u64_e64 s[0:1], s[4:5], v[3:4]
	v_cmp_le_u64_e32 vcc, s[4:5], v[3:4]
	s_and_saveexec_b64 s[4:5], vcc
	s_xor_b64 s[4:5], exec, s[4:5]
; %bb.10:
	v_mov_b32_e32 v5, v0
                                        ; implicit-def: $vgpr6_vgpr7
; %bb.11:
	s_or_saveexec_b64 s[4:5], s[4:5]
	s_load_dwordx2 s[2:3], s[2:3], 0x0
	s_xor_b64 exec, exec, s[4:5]
	s_cbranch_execz .LBB0_15
; %bb.12:
	s_add_u32 s6, s16, s6
	s_addc_u32 s7, s17, s7
	s_load_dwordx2 s[6:7], s[6:7], 0x0
	v_lshlrev_b64 v[5:6], 2, v[6:7]
	v_mov_b32_e32 v12, s9
	s_waitcnt lgkmcnt(0)
	v_mul_lo_u32 v10, s7, v3
	v_mul_lo_u32 v11, s6, v4
	v_mad_u64_u32 v[8:9], s[6:7], s6, v3, 0
	s_movk_i32 s6, 0x7f
	v_add3_u32 v9, v9, v11, v10
	v_lshlrev_b64 v[7:8], 2, v[8:9]
	v_add_co_u32_e32 v7, vcc, s8, v7
	v_addc_co_u32_e32 v8, vcc, v12, v8, vcc
	v_add_co_u32_e32 v7, vcc, v7, v5
	v_addc_co_u32_e32 v6, vcc, v8, v6, vcc
	v_lshlrev_b32_e32 v5, 2, v0
	v_add_co_u32_e32 v8, vcc, v7, v5
	v_addc_co_u32_e32 v9, vcc, 0, v6, vcc
	v_or_b32_e32 v24, 0xe00, v5
	v_add_co_u32_e32 v10, vcc, v7, v24
	v_addc_co_u32_e32 v11, vcc, 0, v6, vcc
	global_load_dword v25, v[8:9], off
	global_load_dword v26, v[8:9], off offset:512
	global_load_dword v27, v[8:9], off offset:1024
	;; [unrolled: 1-line block ×6, first 2 shown]
	global_load_dword v32, v[10:11], off
	v_or_b32_e32 v8, 0x1000, v5
	v_add_co_u32_e32 v8, vcc, v7, v8
	v_addc_co_u32_e32 v9, vcc, 0, v6, vcc
	v_or_b32_e32 v10, 0x1200, v5
	v_add_co_u32_e32 v10, vcc, v7, v10
	v_addc_co_u32_e32 v11, vcc, 0, v6, vcc
	;; [unrolled: 3-line block ×8, first 2 shown]
	global_load_dword v34, v[8:9], off
	global_load_dword v35, v[10:11], off
	;; [unrolled: 1-line block ×8, first 2 shown]
	v_or_b32_e32 v8, 0x2000, v5
	v_add_co_u32_e32 v8, vcc, v7, v8
	v_addc_co_u32_e32 v9, vcc, 0, v6, vcc
	v_or_b32_e32 v10, 0x2200, v5
	v_add_co_u32_e32 v10, vcc, v7, v10
	v_addc_co_u32_e32 v11, vcc, 0, v6, vcc
	;; [unrolled: 3-line block ×4, first 2 shown]
	global_load_dword v16, v[8:9], off
	global_load_dword v17, v[10:11], off
	global_load_dword v18, v[12:13], off
	global_load_dword v19, v[14:15], off
	v_add_u32_e32 v5, 0, v5
	v_add_u32_e32 v8, 0, v24
	s_waitcnt vmcnt(18)
	ds_write2st64_b32 v5, v25, v26 offset1:2
	s_waitcnt vmcnt(16)
	ds_write2st64_b32 v5, v27, v28 offset0:4 offset1:6
	s_waitcnt vmcnt(14)
	ds_write2st64_b32 v5, v29, v30 offset0:8 offset1:10
	v_cmp_eq_u32_e32 vcc, s6, v0
	s_waitcnt vmcnt(12)
	ds_write_b32 v8, v32
	s_waitcnt vmcnt(11)
	ds_write2st64_b32 v5, v31, v34 offset0:12 offset1:16
	s_waitcnt vmcnt(9)
	ds_write2st64_b32 v5, v35, v36 offset0:18 offset1:20
	;; [unrolled: 2-line block ×4, first 2 shown]
	v_add_u32_e32 v8, 0, v33
	s_waitcnt vmcnt(4)
	ds_write_b32 v8, v41
	s_waitcnt vmcnt(2)
	ds_write2st64_b32 v5, v16, v17 offset0:32 offset1:34
	s_waitcnt vmcnt(0)
	ds_write2st64_b32 v5, v18, v19 offset0:36 offset1:38
	v_mov_b32_e32 v5, v0
	s_and_saveexec_b64 s[6:7], vcc
	s_cbranch_execz .LBB0_14
; %bb.13:
	v_add_co_u32_e32 v5, vcc, 0x2000, v7
	v_addc_co_u32_e32 v6, vcc, 0, v6, vcc
	global_load_dword v5, v[5:6], off offset:2048
	v_mov_b32_e32 v6, 0
	s_waitcnt vmcnt(0)
	ds_write_b32 v6, v5 offset:10240
	v_mov_b32_e32 v5, 0x7f
.LBB0_14:
	s_or_b64 exec, exec, s[6:7]
.LBB0_15:
	s_or_b64 exec, exec, s[4:5]
	v_lshlrev_b32_e32 v8, 2, v5
	v_add_u32_e32 v10, 0, v8
	s_waitcnt lgkmcnt(0)
	s_barrier
	v_sub_u32_e32 v9, 0, v8
	ds_read_u16 v13, v10
	ds_read_u16 v14, v9 offset:10240
	s_add_u32 s4, s12, 0x27f0
	s_addc_u32 s5, s13, 0
	v_cmp_ne_u32_e32 vcc, 0, v5
                                        ; implicit-def: $vgpr6_vgpr7
	s_waitcnt lgkmcnt(0)
	v_add_f16_e32 v11, v14, v13
	v_sub_f16_e32 v12, v13, v14
	s_and_saveexec_b64 s[6:7], vcc
	s_xor_b64 s[6:7], exec, s[6:7]
	s_cbranch_execz .LBB0_17
; %bb.16:
	v_mov_b32_e32 v6, 0
	v_lshlrev_b64 v[11:12], 2, v[5:6]
	v_mov_b32_e32 v7, s5
	v_add_co_u32_e32 v11, vcc, s4, v11
	v_addc_co_u32_e32 v12, vcc, v7, v12, vcc
	global_load_dword v7, v[11:12], off
	ds_read_u16 v11, v9 offset:10242
	ds_read_u16 v12, v10 offset:2
	v_add_f16_e32 v15, v14, v13
	v_sub_f16_e32 v13, v13, v14
	s_waitcnt lgkmcnt(0)
	v_add_f16_e32 v14, v11, v12
	v_sub_f16_e32 v11, v12, v11
	s_waitcnt vmcnt(0)
	v_lshrrev_b32_e32 v12, 16, v7
	v_fma_f16 v16, v13, v12, v15
	v_fma_f16 v17, v14, v12, v11
	v_fma_f16 v15, -v13, v12, v15
	v_fma_f16 v18, v14, v12, -v11
	v_fma_f16 v11, -v7, v14, v16
	v_fma_f16 v12, v13, v7, v17
	v_fma_f16 v14, v7, v14, v15
	;; [unrolled: 1-line block ×3, first 2 shown]
	v_pack_b32_f16 v7, v14, v7
	ds_write_b32 v9, v7 offset:10240
	v_mov_b32_e32 v7, v6
	v_mov_b32_e32 v6, v5
.LBB0_17:
	s_andn2_saveexec_b64 s[6:7], s[6:7]
	s_cbranch_execz .LBB0_19
; %bb.18:
	v_mov_b32_e32 v13, 0
	ds_read_b32 v6, v13 offset:5120
	s_mov_b32 s8, 0xc0004000
	s_waitcnt lgkmcnt(0)
	v_pk_mul_f16 v14, v6, s8
	v_mov_b32_e32 v6, 0
	v_mov_b32_e32 v7, 0
	ds_write_b32 v13, v14 offset:5120
.LBB0_19:
	s_or_b64 exec, exec, s[6:7]
	v_lshlrev_b64 v[6:7], 2, v[6:7]
	v_mov_b32_e32 v14, s5
	v_add_co_u32_e32 v13, vcc, s4, v6
	v_addc_co_u32_e32 v14, vcc, v14, v7, vcc
	global_load_dword v15, v[13:14], off offset:512
	global_load_dword v16, v[13:14], off offset:1024
	;; [unrolled: 1-line block ×4, first 2 shown]
	s_mov_b32 s6, 0x5040100
	v_or_b32_e32 v6, 0x400, v5
	v_mov_b32_e32 v7, 0
	v_perm_b32 v20, v12, v11, s6
	v_lshlrev_b64 v[11:12], 2, v[6:7]
	v_mov_b32_e32 v18, 0xe00
	v_mov_b32_e32 v19, s5
	ds_write_b32 v10, v20
	v_add_co_u32_e32 v11, vcc, s4, v11
	v_lshl_or_b32 v18, v0, 2, v18
	ds_read_b32 v6, v10 offset:512
	ds_read_b32 v20, v9 offset:9728
	v_addc_co_u32_e32 v12, vcc, v19, v12, vcc
	global_load_dword v19, v[13:14], off offset:2560
	global_load_dword v22, v[13:14], off offset:3072
	global_load_dword v23, v18, s[4:5]
	global_load_dword v24, v[11:12], off
	s_movk_i32 s8, 0x34f2
	s_waitcnt lgkmcnt(0)
	v_add_f16_e32 v11, v6, v20
	v_add_f16_sdwa v12, v20, v6 dst_sel:DWORD dst_unused:UNUSED_PAD src0_sel:WORD_1 src1_sel:WORD_1
	v_sub_f16_e32 v13, v6, v20
	v_sub_f16_sdwa v6, v6, v20 dst_sel:DWORD dst_unused:UNUSED_PAD src0_sel:WORD_1 src1_sel:WORD_1
	s_movk_i32 s7, 0x3b9c
	s_movk_i32 s6, 0x38b4
	s_mov_b32 s14, 0xb4f2
	s_mov_b32 s15, 0xba79
	s_movk_i32 s9, 0x3a79
	s_waitcnt vmcnt(7)
	v_lshrrev_b32_e32 v14, 16, v15
	v_fma_f16 v20, v13, v14, v11
	v_fma_f16 v25, v12, v14, v6
	v_fma_f16 v11, -v13, v14, v11
	v_fma_f16 v6, v12, v14, -v6
	v_fma_f16 v14, -v15, v12, v20
	v_fma_f16 v20, v13, v15, v25
	v_fma_f16 v11, v15, v12, v11
	v_fma_f16 v6, v13, v15, v6
	v_pack_b32_f16 v12, v14, v20
	v_pack_b32_f16 v6, v11, v6
	ds_write_b32 v10, v12 offset:512
	ds_write_b32 v9, v6 offset:9728
	ds_read_b32 v6, v10 offset:1024
	ds_read_b32 v11, v9 offset:9216
	s_waitcnt vmcnt(6)
	v_lshrrev_b32_e32 v12, 16, v16
	s_waitcnt lgkmcnt(0)
	v_add_f16_e32 v13, v6, v11
	v_add_f16_sdwa v14, v11, v6 dst_sel:DWORD dst_unused:UNUSED_PAD src0_sel:WORD_1 src1_sel:WORD_1
	v_sub_f16_e32 v15, v6, v11
	v_sub_f16_sdwa v6, v6, v11 dst_sel:DWORD dst_unused:UNUSED_PAD src0_sel:WORD_1 src1_sel:WORD_1
	v_fma_f16 v11, v15, v12, v13
	v_fma_f16 v20, v14, v12, v6
	v_fma_f16 v13, -v15, v12, v13
	v_fma_f16 v6, v14, v12, -v6
	v_fma_f16 v11, -v16, v14, v11
	v_fma_f16 v12, v15, v16, v20
	v_fma_f16 v13, v16, v14, v13
	v_fma_f16 v6, v15, v16, v6
	v_pack_b32_f16 v11, v11, v12
	v_pack_b32_f16 v6, v13, v6
	ds_write_b32 v10, v11 offset:1024
	ds_write_b32 v9, v6 offset:9216
	ds_read_b32 v6, v10 offset:1536
	ds_read_b32 v11, v9 offset:8704
	s_waitcnt vmcnt(5)
	v_lshrrev_b32_e32 v12, 16, v17
	s_waitcnt lgkmcnt(0)
	v_add_f16_e32 v13, v6, v11
	v_add_f16_sdwa v14, v11, v6 dst_sel:DWORD dst_unused:UNUSED_PAD src0_sel:WORD_1 src1_sel:WORD_1
	v_sub_f16_e32 v15, v6, v11
	v_sub_f16_sdwa v6, v6, v11 dst_sel:DWORD dst_unused:UNUSED_PAD src0_sel:WORD_1 src1_sel:WORD_1
	;; [unrolled: 21-line block ×3, first 2 shown]
	v_fma_f16 v11, v15, v12, v13
	v_fma_f16 v16, v14, v12, v6
	v_fma_f16 v13, -v15, v12, v13
	v_fma_f16 v6, v14, v12, -v6
	v_fma_f16 v11, -v21, v14, v11
	v_fma_f16 v12, v15, v21, v16
	v_fma_f16 v13, v21, v14, v13
	v_fma_f16 v6, v15, v21, v6
	v_pack_b32_f16 v11, v11, v12
	v_pack_b32_f16 v6, v13, v6
	ds_write_b32 v10, v11 offset:2048
	ds_write_b32 v9, v6 offset:8192
	ds_read_b32 v13, v10 offset:2560
	ds_read_b32 v14, v9 offset:7680
	v_or_b32_e32 v6, 0x480, v5
	v_lshlrev_b64 v[11:12], 2, v[6:7]
	s_waitcnt vmcnt(3)
	v_lshrrev_b32_e32 v6, 16, v19
	v_mov_b32_e32 v15, s5
	s_waitcnt lgkmcnt(0)
	v_add_f16_e32 v16, v13, v14
	v_add_f16_sdwa v17, v14, v13 dst_sel:DWORD dst_unused:UNUSED_PAD src0_sel:WORD_1 src1_sel:WORD_1
	v_sub_f16_e32 v20, v13, v14
	v_sub_f16_sdwa v13, v13, v14 dst_sel:DWORD dst_unused:UNUSED_PAD src0_sel:WORD_1 src1_sel:WORD_1
	v_fma_f16 v14, v20, v6, v16
	v_fma_f16 v21, v17, v6, v13
	v_fma_f16 v16, -v20, v6, v16
	v_fma_f16 v6, v17, v6, -v13
	v_fma_f16 v13, -v19, v17, v14
	v_fma_f16 v14, v20, v19, v21
	v_fma_f16 v16, v19, v17, v16
	;; [unrolled: 1-line block ×3, first 2 shown]
	v_pack_b32_f16 v13, v13, v14
	v_add_co_u32_e32 v11, vcc, s4, v11
	v_pack_b32_f16 v6, v16, v6
	ds_write_b32 v10, v13 offset:2560
	ds_write_b32 v9, v6 offset:7680
	v_addc_co_u32_e32 v12, vcc, v15, v12, vcc
	global_load_dword v12, v[11:12], off
	ds_read_b32 v6, v10 offset:3072
	ds_read_b32 v11, v9 offset:7168
	s_movk_i32 s4, 0x1f0
	s_mov_b32 s5, 0xbb9c
	s_waitcnt lgkmcnt(0)
	v_add_f16_e32 v13, v6, v11
	v_add_f16_sdwa v14, v11, v6 dst_sel:DWORD dst_unused:UNUSED_PAD src0_sel:WORD_1 src1_sel:WORD_1
	v_sub_f16_e32 v15, v6, v11
	v_sub_f16_sdwa v6, v6, v11 dst_sel:DWORD dst_unused:UNUSED_PAD src0_sel:WORD_1 src1_sel:WORD_1
	s_waitcnt vmcnt(3)
	v_lshrrev_b32_e32 v11, 16, v22
	v_fma_f16 v16, v15, v11, v13
	v_fma_f16 v17, v14, v11, v6
	v_fma_f16 v13, -v15, v11, v13
	v_fma_f16 v6, v14, v11, -v6
	v_fma_f16 v16, -v22, v14, v16
	v_fma_f16 v17, v15, v22, v17
	v_fma_f16 v13, v22, v14, v13
	;; [unrolled: 1-line block ×3, first 2 shown]
	v_pack_b32_f16 v16, v16, v17
	v_pack_b32_f16 v6, v13, v6
	ds_write_b32 v10, v16 offset:3072
	ds_write_b32 v9, v6 offset:7168
	v_add_u32_e32 v6, 0, v18
	ds_read_b32 v11, v6
	ds_read_b32 v13, v9 offset:6656
	s_waitcnt lgkmcnt(0)
	v_add_f16_e32 v14, v11, v13
	v_add_f16_sdwa v15, v13, v11 dst_sel:DWORD dst_unused:UNUSED_PAD src0_sel:WORD_1 src1_sel:WORD_1
	v_sub_f16_e32 v16, v11, v13
	v_sub_f16_sdwa v11, v11, v13 dst_sel:DWORD dst_unused:UNUSED_PAD src0_sel:WORD_1 src1_sel:WORD_1
	s_waitcnt vmcnt(2)
	v_lshrrev_b32_e32 v13, 16, v23
	v_fma_f16 v17, v16, v13, v14
	v_fma_f16 v18, v15, v13, v11
	v_fma_f16 v17, -v23, v15, v17
	v_fma_f16 v18, v16, v23, v18
	v_pack_b32_f16 v17, v17, v18
	ds_write_b32 v6, v17
	v_fma_f16 v6, -v16, v13, v14
	v_fma_f16 v11, v15, v13, -v11
	v_fma_f16 v6, v23, v15, v6
	v_fma_f16 v11, v16, v23, v11
	v_pack_b32_f16 v6, v6, v11
	ds_write_b32 v9, v6 offset:6656
	ds_read_b32 v6, v10 offset:4096
	ds_read_b32 v11, v9 offset:6144
	s_waitcnt lgkmcnt(0)
	v_add_f16_e32 v13, v6, v11
	v_add_f16_sdwa v14, v11, v6 dst_sel:DWORD dst_unused:UNUSED_PAD src0_sel:WORD_1 src1_sel:WORD_1
	v_sub_f16_e32 v15, v6, v11
	v_sub_f16_sdwa v6, v6, v11 dst_sel:DWORD dst_unused:UNUSED_PAD src0_sel:WORD_1 src1_sel:WORD_1
	s_waitcnt vmcnt(1)
	v_lshrrev_b32_e32 v11, 16, v24
	v_fma_f16 v16, v15, v11, v13
	v_fma_f16 v17, v14, v11, v6
	v_fma_f16 v13, -v15, v11, v13
	v_fma_f16 v6, v14, v11, -v6
	v_fma_f16 v16, -v24, v14, v16
	v_fma_f16 v17, v15, v24, v17
	v_fma_f16 v13, v24, v14, v13
	v_fma_f16 v6, v15, v24, v6
	v_pack_b32_f16 v16, v16, v17
	v_pack_b32_f16 v6, v13, v6
	ds_write_b32 v10, v16 offset:4096
	ds_write_b32 v9, v6 offset:6144
	ds_read_b32 v13, v10 offset:4608
	ds_read_b32 v14, v9 offset:5632
	v_or_b32_e32 v6, 0x80, v5
	v_lshl_add_u32 v30, v6, 4, 0
	v_or_b32_e32 v11, 0x100, v5
	v_lshl_add_u32 v37, v11, 4, 0
	s_waitcnt lgkmcnt(0)
	v_add_f16_e32 v16, v13, v14
	v_add_f16_sdwa v17, v14, v13 dst_sel:DWORD dst_unused:UNUSED_PAD src0_sel:WORD_1 src1_sel:WORD_1
	v_sub_f16_e32 v18, v13, v14
	v_sub_f16_sdwa v13, v13, v14 dst_sel:DWORD dst_unused:UNUSED_PAD src0_sel:WORD_1 src1_sel:WORD_1
	v_or_b32_e32 v15, 0x180, v5
	v_lshl_add_u32 v42, v15, 4, 0
	s_waitcnt vmcnt(0)
	v_lshrrev_b32_e32 v14, 16, v12
	v_fma_f16 v19, v18, v14, v16
	v_fma_f16 v20, v17, v14, v13
	v_fma_f16 v16, -v18, v14, v16
	v_fma_f16 v13, v17, v14, -v13
	v_fma_f16 v19, -v12, v17, v19
	v_fma_f16 v20, v18, v12, v20
	v_fma_f16 v16, v12, v17, v16
	;; [unrolled: 1-line block ×3, first 2 shown]
	v_pack_b32_f16 v19, v19, v20
	v_pack_b32_f16 v12, v16, v12
	ds_write_b32 v10, v19 offset:4608
	ds_write_b32 v9, v12 offset:5632
	s_waitcnt lgkmcnt(0)
	s_barrier
	s_barrier
	ds_read2st64_b32 v[12:13], v10 offset1:2
	ds_read2st64_b32 v[16:17], v10 offset0:20 offset1:22
	ds_read2st64_b32 v[18:19], v10 offset0:8 offset1:10
	;; [unrolled: 1-line block ×3, first 2 shown]
	v_mad_u32_u24 v14, v5, 12, v10
	v_or_b32_e32 v9, 0x200, v5
	s_waitcnt lgkmcnt(2)
	v_pk_add_f16 v16, v12, v16 neg_lo:[0,1] neg_hi:[0,1]
	v_pk_fma_f16 v12, v12, 2.0, v16 op_sel_hi:[1,0,1] neg_lo:[0,0,1] neg_hi:[0,0,1]
	s_waitcnt lgkmcnt(0)
	v_pk_add_f16 v21, v19, v21 neg_lo:[0,1] neg_hi:[0,1]
	v_pk_fma_f16 v19, v19, 2.0, v21 op_sel_hi:[1,0,1] neg_lo:[0,0,1] neg_hi:[0,0,1]
	v_pk_add_f16 v19, v12, v19 neg_lo:[0,1] neg_hi:[0,1]
	v_alignbit_b32 v22, s0, v16, 16
	v_pk_fma_f16 v25, v12, 2.0, v19 op_sel_hi:[1,0,1] neg_lo:[0,0,1] neg_hi:[0,0,1]
	v_alignbit_b32 v12, s0, v21, 16
	v_pk_add_f16 v27, v22, v21 neg_lo:[0,1] neg_hi:[0,1]
	ds_read2st64_b32 v[21:22], v10 offset0:12 offset1:14
	ds_read2st64_b32 v[23:24], v10 offset0:32 offset1:34
	v_pk_add_f16 v26, v16, v12
	v_lshrrev_b32_e32 v12, 16, v16
	v_pk_add_f16 v31, v13, v17 neg_lo:[0,1] neg_hi:[0,1]
	v_fma_f16 v29, v12, 2.0, -v27
	s_waitcnt lgkmcnt(0)
	v_pk_add_f16 v23, v21, v23 neg_lo:[0,1] neg_hi:[0,1]
	v_pk_fma_f16 v12, v13, 2.0, v31 op_sel_hi:[1,0,1] neg_lo:[0,0,1] neg_hi:[0,0,1]
	v_pk_fma_f16 v13, v21, 2.0, v23 op_sel_hi:[1,0,1] neg_lo:[0,0,1] neg_hi:[0,0,1]
	v_pk_add_f16 v32, v12, v13 neg_lo:[0,1] neg_hi:[0,1]
	v_pk_fma_f16 v33, v12, 2.0, v32 op_sel_hi:[1,0,1] neg_lo:[0,0,1] neg_hi:[0,0,1]
	v_alignbit_b32 v12, s0, v23, 16
	v_fma_f16 v28, v16, 2.0, -v26
	v_pk_add_f16 v34, v31, v12
	ds_read2st64_b32 v[12:13], v10 offset0:4 offset1:6
	ds_read2st64_b32 v[16:17], v10 offset0:24 offset1:26
	v_alignbit_b32 v35, s0, v31, 16
	v_lshrrev_b32_e32 v21, 16, v31
	v_pk_add_f16 v35, v35, v23 neg_lo:[0,1] neg_hi:[0,1]
	v_fma_f16 v36, v21, 2.0, -v35
	s_waitcnt lgkmcnt(0)
	v_pk_add_f16 v16, v12, v16 neg_lo:[0,1] neg_hi:[0,1]
	v_pk_add_f16 v21, v22, v24 neg_lo:[0,1] neg_hi:[0,1]
	v_pk_fma_f16 v12, v12, 2.0, v16 op_sel_hi:[1,0,1] neg_lo:[0,0,1] neg_hi:[0,0,1]
	v_pk_fma_f16 v22, v22, 2.0, v21 op_sel_hi:[1,0,1] neg_lo:[0,0,1] neg_hi:[0,0,1]
	v_pk_add_f16 v38, v12, v22 neg_lo:[0,1] neg_hi:[0,1]
	v_alignbit_b32 v22, s0, v21, 16
	v_pk_add_f16 v39, v16, v22
	v_alignbit_b32 v22, s0, v16, 16
	v_pk_add_f16 v41, v22, v21 neg_lo:[0,1] neg_hi:[0,1]
	ds_read2st64_b32 v[21:22], v10 offset0:16 offset1:18
	ds_read2st64_b32 v[23:24], v10 offset0:36 offset1:38
	v_pack_b32_f16 v28, v28, v29
	v_fma_f16 v31, v31, 2.0, -v34
	s_waitcnt lgkmcnt(0)
	s_barrier
	ds_write2_b32 v14, v25, v28 offset1:1
	v_pack_b32_f16 v25, v26, v27
	v_lshrrev_b32_e32 v40, 16, v16
	v_pk_add_f16 v17, v13, v17 neg_lo:[0,1] neg_hi:[0,1]
	v_pk_add_f16 v23, v21, v23 neg_lo:[0,1] neg_hi:[0,1]
	ds_write2_b32 v14, v19, v25 offset0:2 offset1:3
	v_pack_b32_f16 v14, v31, v36
	v_fma_f16 v16, v16, 2.0, -v39
	v_fma_f16 v40, v40, 2.0, -v41
	v_alignbit_b32 v43, s0, v23, 16
	v_alignbit_b32 v45, s0, v17, 16
	ds_write2_b32 v30, v33, v14 offset1:1
	v_pack_b32_f16 v14, v34, v35
	v_pk_fma_f16 v12, v12, 2.0, v38 op_sel_hi:[1,0,1] neg_lo:[0,0,1] neg_hi:[0,0,1]
	v_pk_fma_f16 v13, v13, 2.0, v17 op_sel_hi:[1,0,1] neg_lo:[0,0,1] neg_hi:[0,0,1]
	;; [unrolled: 1-line block ×3, first 2 shown]
	v_pk_add_f16 v43, v17, v43
	v_lshrrev_b32_e32 v44, 16, v17
	v_pk_add_f16 v23, v45, v23 neg_lo:[0,1] neg_hi:[0,1]
	v_pk_add_f16 v20, v18, v20 neg_lo:[0,1] neg_hi:[0,1]
	;; [unrolled: 1-line block ×3, first 2 shown]
	ds_write2_b32 v30, v32, v14 offset0:2 offset1:3
	v_pack_b32_f16 v14, v16, v40
	v_pk_add_f16 v21, v13, v21 neg_lo:[0,1] neg_hi:[0,1]
	v_fma_f16 v17, v17, 2.0, -v43
	v_fma_f16 v44, v44, 2.0, -v23
	v_alignbit_b32 v46, s0, v24, 16
	v_alignbit_b32 v48, s0, v20, 16
	ds_write2_b32 v37, v12, v14 offset1:1
	v_pack_b32_f16 v12, v39, v41
	v_pk_fma_f16 v13, v13, 2.0, v21 op_sel_hi:[1,0,1] neg_lo:[0,0,1] neg_hi:[0,0,1]
	v_pk_fma_f16 v18, v18, 2.0, v20 op_sel_hi:[1,0,1] neg_lo:[0,0,1] neg_hi:[0,0,1]
	;; [unrolled: 1-line block ×3, first 2 shown]
	v_pk_add_f16 v46, v20, v46
	v_lshrrev_b32_e32 v47, 16, v20
	v_pk_add_f16 v24, v48, v24 neg_lo:[0,1] neg_hi:[0,1]
	ds_write2_b32 v37, v38, v12 offset0:2 offset1:3
	v_pack_b32_f16 v12, v17, v44
	v_pk_add_f16 v22, v18, v22 neg_lo:[0,1] neg_hi:[0,1]
	v_fma_f16 v20, v20, 2.0, -v46
	v_fma_f16 v47, v47, 2.0, -v24
	ds_write2_b32 v42, v13, v12 offset1:1
	v_pack_b32_f16 v12, v43, v23
	v_lshl_add_u32 v45, v9, 4, 0
	v_pk_fma_f16 v18, v18, 2.0, v22 op_sel_hi:[1,0,1] neg_lo:[0,0,1] neg_hi:[0,0,1]
	ds_write2_b32 v42, v21, v12 offset0:2 offset1:3
	v_pack_b32_f16 v12, v20, v47
	ds_write2_b32 v45, v18, v12 offset1:1
	v_pack_b32_f16 v12, v46, v24
	v_and_b32_e32 v14, 3, v0
	ds_write2_b32 v45, v22, v12 offset0:2 offset1:3
	v_mul_u32_u24_e32 v12, 3, v14
	v_lshlrev_b32_e32 v12, 2, v12
	s_waitcnt lgkmcnt(0)
	s_barrier
	global_load_dwordx3 v[16:18], v12, s[12:13]
	v_lshlrev_b32_e32 v12, 2, v11
	v_lshlrev_b32_e32 v11, 2, v15
	ds_read2st64_b32 v[19:20], v10 offset1:2
	ds_read2st64_b32 v[21:22], v10 offset0:8 offset1:10
	ds_read2st64_b32 v[23:24], v10 offset0:20 offset1:22
	ds_read2st64_b32 v[25:26], v10 offset0:32 offset1:34
	ds_read2st64_b32 v[27:28], v10 offset0:28 offset1:30
	ds_read_u16 v15, v10 offset:3074
	ds_read2st64_b32 v[29:30], v10 offset0:12 offset1:14
	s_waitcnt lgkmcnt(5)
	v_lshrrev_b32_e32 v50, 16, v22
	s_waitcnt lgkmcnt(4)
	v_lshrrev_b32_e32 v39, 16, v24
	;; [unrolled: 2-line block ×3, first 2 shown]
	ds_read2st64_b32 v[31:32], v10 offset0:24 offset1:26
	ds_read2st64_b32 v[33:34], v10 offset0:4 offset1:6
	;; [unrolled: 1-line block ×3, first 2 shown]
	s_waitcnt lgkmcnt(3)
	v_lshrrev_b32_e32 v41, 16, v30
	v_lshrrev_b32_e32 v43, 16, v26
	s_waitcnt lgkmcnt(2)
	v_lshrrev_b32_e32 v42, 16, v31
	ds_read2st64_b32 v[37:38], v10 offset0:36 offset1:38
	s_waitcnt lgkmcnt(1)
	v_lshrrev_b32_e32 v44, 16, v35
	v_lshrrev_b32_e32 v45, 16, v32
	;; [unrolled: 1-line block ×4, first 2 shown]
	s_waitcnt lgkmcnt(0)
	v_lshrrev_b32_e32 v46, 16, v37
	v_lshrrev_b32_e32 v49, 16, v38
	v_and_or_b32 v55, v8, s4, v14
	v_lshl_add_u32 v55, v55, 2, 0
	v_lshlrev_b32_e32 v13, 2, v6
	s_waitcnt vmcnt(0)
	s_barrier
	s_movk_i32 s4, 0x3f0
	v_lshrrev_b32_e32 v54, 16, v21
	v_lshlrev_b32_e32 v9, 2, v9
	v_lshrrev_b32_e32 v6, 6, v6
	v_mul_u32_u24_e32 v6, 0x280, v6
	v_mul_f16_sdwa v51, v16, v50 dst_sel:DWORD dst_unused:UNUSED_PAD src0_sel:WORD_1 src1_sel:DWORD
	v_fma_f16 v51, v16, v22, v51
	v_mul_f16_sdwa v22, v16, v22 dst_sel:DWORD dst_unused:UNUSED_PAD src0_sel:WORD_1 src1_sel:DWORD
	v_fma_f16 v22, v16, v50, -v22
	v_lshrrev_b32_e32 v50, 16, v23
	v_mul_f16_sdwa v52, v17, v50 dst_sel:DWORD dst_unused:UNUSED_PAD src0_sel:WORD_1 src1_sel:DWORD
	v_fma_f16 v52, v17, v23, v52
	v_mul_f16_sdwa v23, v17, v23 dst_sel:DWORD dst_unused:UNUSED_PAD src0_sel:WORD_1 src1_sel:DWORD
	v_fma_f16 v23, v17, v50, -v23
	v_lshrrev_b32_e32 v50, 16, v28
	v_mul_f16_sdwa v53, v18, v50 dst_sel:DWORD dst_unused:UNUSED_PAD src0_sel:WORD_1 src1_sel:DWORD
	v_fma_f16 v53, v18, v28, v53
	v_mul_f16_sdwa v28, v18, v28 dst_sel:DWORD dst_unused:UNUSED_PAD src0_sel:WORD_1 src1_sel:DWORD
	v_fma_f16 v28, v18, v50, -v28
	v_mul_f16_sdwa v50, v15, v16 dst_sel:DWORD dst_unused:UNUSED_PAD src0_sel:DWORD src1_sel:WORD_1
	v_fma_f16 v50, v16, v29, v50
	v_mul_f16_sdwa v29, v16, v29 dst_sel:DWORD dst_unused:UNUSED_PAD src0_sel:WORD_1 src1_sel:DWORD
	v_fma_f16 v15, v15, v16, -v29
	v_mul_f16_sdwa v29, v39, v17 dst_sel:DWORD dst_unused:UNUSED_PAD src0_sel:DWORD src1_sel:WORD_1
	v_fma_f16 v29, v24, v17, v29
	v_mul_f16_sdwa v24, v24, v17 dst_sel:DWORD dst_unused:UNUSED_PAD src0_sel:DWORD src1_sel:WORD_1
	v_fma_f16 v24, v39, v17, -v24
	v_mul_f16_sdwa v39, v40, v18 dst_sel:DWORD dst_unused:UNUSED_PAD src0_sel:DWORD src1_sel:WORD_1
	v_fma_f16 v39, v25, v18, v39
	v_mul_f16_sdwa v25, v25, v18 dst_sel:DWORD dst_unused:UNUSED_PAD src0_sel:DWORD src1_sel:WORD_1
	;; [unrolled: 4-line block ×11, first 2 shown]
	v_fma_f16 v18, v49, v18, -v38
	v_lshrrev_b32_e32 v38, 16, v19
	v_sub_f16_e32 v47, v19, v52
	v_sub_f16_e32 v23, v38, v23
	;; [unrolled: 1-line block ×4, first 2 shown]
	v_fma_f16 v19, v19, 2.0, -v47
	v_fma_f16 v38, v38, 2.0, -v23
	;; [unrolled: 1-line block ×4, first 2 shown]
	v_sub_f16_e32 v49, v19, v49
	v_sub_f16_e32 v22, v38, v22
	v_add_f16_e32 v28, v47, v28
	v_sub_f16_e32 v48, v23, v48
	v_lshrrev_b32_e32 v51, 16, v20
	v_fma_f16 v19, v19, 2.0, -v49
	v_fma_f16 v38, v38, 2.0, -v22
	;; [unrolled: 1-line block ×4, first 2 shown]
	v_sub_f16_e32 v29, v20, v29
	v_sub_f16_e32 v24, v51, v24
	;; [unrolled: 1-line block ×4, first 2 shown]
	v_fma_f16 v20, v20, 2.0, -v29
	v_fma_f16 v51, v51, 2.0, -v24
	;; [unrolled: 1-line block ×4, first 2 shown]
	v_pack_b32_f16 v19, v19, v38
	v_pack_b32_f16 v23, v47, v23
	v_sub_f16_e32 v50, v20, v50
	v_sub_f16_e32 v15, v51, v15
	v_add_f16_e32 v25, v29, v25
	v_sub_f16_e32 v39, v24, v39
	v_lshrrev_b32_e32 v52, 16, v33
	ds_write2_b32 v55, v19, v23 offset1:4
	v_pack_b32_f16 v19, v49, v22
	v_pack_b32_f16 v22, v28, v48
	v_fma_f16 v20, v20, 2.0, -v50
	v_fma_f16 v51, v51, 2.0, -v15
	;; [unrolled: 1-line block ×4, first 2 shown]
	v_sub_f16_e32 v41, v33, v41
	v_sub_f16_e32 v31, v52, v31
	;; [unrolled: 1-line block ×4, first 2 shown]
	ds_write2_b32 v55, v19, v22 offset0:8 offset1:12
	v_and_or_b32 v19, v13, s4, v14
	v_fma_f16 v33, v33, 2.0, -v41
	v_fma_f16 v52, v52, 2.0, -v31
	;; [unrolled: 1-line block ×4, first 2 shown]
	v_lshl_add_u32 v19, v19, 2, 0
	v_pack_b32_f16 v20, v20, v51
	v_pack_b32_f16 v22, v29, v24
	v_sub_f16_e32 v40, v33, v40
	v_sub_f16_e32 v30, v52, v30
	v_add_f16_e32 v26, v41, v26
	v_sub_f16_e32 v42, v31, v42
	v_lshrrev_b32_e32 v53, 16, v34
	ds_write2_b32 v19, v20, v22 offset1:4
	v_pack_b32_f16 v15, v50, v15
	v_pack_b32_f16 v20, v25, v39
	s_movk_i32 s4, 0x5f0
	v_fma_f16 v33, v33, 2.0, -v40
	v_fma_f16 v52, v52, 2.0, -v30
	;; [unrolled: 1-line block ×4, first 2 shown]
	v_sub_f16_e32 v44, v34, v44
	v_sub_f16_e32 v32, v53, v32
	;; [unrolled: 1-line block ×4, first 2 shown]
	ds_write2_b32 v19, v15, v20 offset0:8 offset1:12
	v_and_or_b32 v15, v12, s4, v14
	v_fma_f16 v34, v34, 2.0, -v44
	v_fma_f16 v53, v53, 2.0, -v32
	;; [unrolled: 1-line block ×4, first 2 shown]
	v_lshl_add_u32 v15, v15, 2, 0
	v_pack_b32_f16 v19, v33, v52
	v_pack_b32_f16 v20, v41, v31
	v_sub_f16_e32 v43, v34, v43
	v_sub_f16_e32 v35, v53, v35
	v_add_f16_e32 v37, v44, v37
	v_sub_f16_e32 v45, v32, v45
	v_sub_f16_e32 v36, v21, v36
	;; [unrolled: 1-line block ×5, first 2 shown]
	ds_write2_b32 v15, v19, v20 offset1:4
	v_pack_b32_f16 v19, v40, v30
	v_pack_b32_f16 v20, v26, v42
	s_movk_i32 s4, 0x7f0
	v_fma_f16 v34, v34, 2.0, -v43
	v_fma_f16 v53, v53, 2.0, -v35
	;; [unrolled: 1-line block ×8, first 2 shown]
	ds_write2_b32 v15, v19, v20 offset0:8 offset1:12
	v_and_or_b32 v15, v11, s4, v14
	v_sub_f16_e32 v46, v21, v46
	v_sub_f16_e32 v16, v54, v16
	v_add_f16_e32 v18, v36, v18
	v_sub_f16_e32 v27, v17, v27
	v_lshl_add_u32 v15, v15, 2, 0
	v_pack_b32_f16 v19, v34, v53
	v_pack_b32_f16 v20, v44, v32
	s_movk_i32 s4, 0x9f0
	v_fma_f16 v21, v21, 2.0, -v46
	v_fma_f16 v54, v54, 2.0, -v16
	;; [unrolled: 1-line block ×4, first 2 shown]
	ds_write2_b32 v15, v19, v20 offset1:4
	v_pack_b32_f16 v19, v43, v35
	v_pack_b32_f16 v20, v37, v45
	v_and_or_b32 v14, v9, s4, v14
	ds_write2_b32 v15, v19, v20 offset0:8 offset1:12
	v_lshl_add_u32 v14, v14, 2, 0
	v_pack_b32_f16 v15, v21, v54
	v_pack_b32_f16 v17, v36, v17
	ds_write2_b32 v14, v15, v17 offset1:4
	v_pack_b32_f16 v15, v46, v16
	v_pack_b32_f16 v16, v18, v27
	ds_write2_b32 v14, v15, v16 offset0:8 offset1:12
	v_and_b32_e32 v14, 15, v0
	v_mul_u32_u24_e32 v15, 3, v14
	v_lshlrev_b32_e32 v15, 2, v15
	s_waitcnt lgkmcnt(0)
	s_barrier
	global_load_dwordx3 v[15:17], v15, s[12:13] offset:48
	ds_read2st64_b32 v[18:19], v10 offset1:2
	ds_read2st64_b32 v[20:21], v10 offset0:32 offset1:34
	ds_read2st64_b32 v[22:23], v10 offset0:8 offset1:10
	ds_read2st64_b32 v[24:25], v10 offset0:20 offset1:22
	ds_read2st64_b32 v[26:27], v10 offset0:28 offset1:30
	ds_read2st64_b32 v[28:29], v10 offset0:12 offset1:14
	s_waitcnt lgkmcnt(4)
	v_lshrrev_b32_e32 v38, 16, v20
	s_waitcnt lgkmcnt(3)
	v_lshrrev_b32_e32 v48, 16, v23
	ds_read2st64_b32 v[30:31], v10 offset0:24 offset1:26
	ds_read2st64_b32 v[32:33], v10 offset0:4 offset1:6
	;; [unrolled: 1-line block ×3, first 2 shown]
	v_lshrrev_b32_e32 v41, 16, v21
	s_waitcnt lgkmcnt(3)
	v_lshrrev_b32_e32 v39, 16, v29
	s_waitcnt lgkmcnt(2)
	v_lshrrev_b32_e32 v40, 16, v30
	ds_read2st64_b32 v[36:37], v10 offset0:36 offset1:38
	s_waitcnt lgkmcnt(1)
	v_lshrrev_b32_e32 v42, 16, v34
	v_lshrrev_b32_e32 v43, 16, v31
	;; [unrolled: 1-line block ×4, first 2 shown]
	s_waitcnt lgkmcnt(0)
	v_lshrrev_b32_e32 v44, 16, v36
	v_lshrrev_b32_e32 v47, 16, v37
	s_movk_i32 s4, 0x1c0
	v_and_or_b32 v8, v8, s4, v14
	v_lshl_add_u32 v8, v8, 2, 0
	s_waitcnt vmcnt(0)
	s_barrier
	s_movk_i32 s4, 0x3c0
	v_lshrrev_b32_e32 v54, 16, v22
	v_and_b32_e32 v0, 63, v0
	v_mul_f16_sdwa v49, v15, v48 dst_sel:DWORD dst_unused:UNUSED_PAD src0_sel:WORD_1 src1_sel:DWORD
	v_fma_f16 v49, v15, v23, v49
	v_mul_f16_sdwa v23, v15, v23 dst_sel:DWORD dst_unused:UNUSED_PAD src0_sel:WORD_1 src1_sel:DWORD
	v_fma_f16 v23, v15, v48, -v23
	v_lshrrev_b32_e32 v48, 16, v24
	v_mul_f16_sdwa v50, v16, v48 dst_sel:DWORD dst_unused:UNUSED_PAD src0_sel:WORD_1 src1_sel:DWORD
	v_fma_f16 v50, v16, v24, v50
	v_mul_f16_sdwa v24, v16, v24 dst_sel:DWORD dst_unused:UNUSED_PAD src0_sel:WORD_1 src1_sel:DWORD
	v_fma_f16 v24, v16, v48, -v24
	v_lshrrev_b32_e32 v48, 16, v27
	;; [unrolled: 5-line block ×4, first 2 shown]
	v_mul_f16_sdwa v53, v16, v48 dst_sel:DWORD dst_unused:UNUSED_PAD src0_sel:WORD_1 src1_sel:DWORD
	v_fma_f16 v53, v16, v25, v53
	v_mul_f16_sdwa v25, v16, v25 dst_sel:DWORD dst_unused:UNUSED_PAD src0_sel:WORD_1 src1_sel:DWORD
	v_fma_f16 v25, v16, v48, -v25
	v_mul_f16_sdwa v48, v38, v17 dst_sel:DWORD dst_unused:UNUSED_PAD src0_sel:DWORD src1_sel:WORD_1
	v_fma_f16 v48, v20, v17, v48
	v_mul_f16_sdwa v20, v20, v17 dst_sel:DWORD dst_unused:UNUSED_PAD src0_sel:DWORD src1_sel:WORD_1
	v_fma_f16 v20, v38, v17, -v20
	v_mul_f16_sdwa v38, v39, v15 dst_sel:DWORD dst_unused:UNUSED_PAD src0_sel:DWORD src1_sel:WORD_1
	v_fma_f16 v38, v29, v15, v38
	v_mul_f16_sdwa v29, v29, v15 dst_sel:DWORD dst_unused:UNUSED_PAD src0_sel:DWORD src1_sel:WORD_1
	;; [unrolled: 4-line block ×10, first 2 shown]
	v_fma_f16 v17, v47, v17, -v37
	v_lshrrev_b32_e32 v37, 16, v18
	v_sub_f16_e32 v45, v18, v50
	v_sub_f16_e32 v24, v37, v24
	;; [unrolled: 1-line block ×4, first 2 shown]
	v_fma_f16 v18, v18, 2.0, -v45
	v_fma_f16 v37, v37, 2.0, -v24
	;; [unrolled: 1-line block ×4, first 2 shown]
	v_sub_f16_e32 v47, v18, v47
	v_sub_f16_e32 v23, v37, v23
	v_add_f16_e32 v27, v45, v27
	v_sub_f16_e32 v46, v24, v46
	v_lshrrev_b32_e32 v49, 16, v19
	v_fma_f16 v18, v18, 2.0, -v47
	v_fma_f16 v37, v37, 2.0, -v23
	;; [unrolled: 1-line block ×4, first 2 shown]
	v_sub_f16_e32 v50, v19, v53
	v_sub_f16_e32 v25, v49, v25
	;; [unrolled: 1-line block ×4, first 2 shown]
	v_fma_f16 v19, v19, 2.0, -v50
	v_fma_f16 v49, v49, 2.0, -v25
	;; [unrolled: 1-line block ×4, first 2 shown]
	v_pack_b32_f16 v18, v18, v37
	v_pack_b32_f16 v24, v45, v24
	v_sub_f16_e32 v51, v19, v51
	v_sub_f16_e32 v28, v49, v28
	v_add_f16_e32 v20, v50, v20
	v_sub_f16_e32 v48, v25, v48
	v_lshrrev_b32_e32 v52, 16, v32
	ds_write2_b32 v8, v18, v24 offset1:16
	v_pack_b32_f16 v18, v47, v23
	v_pack_b32_f16 v23, v27, v46
	v_fma_f16 v19, v19, 2.0, -v51
	v_fma_f16 v49, v49, 2.0, -v28
	;; [unrolled: 1-line block ×4, first 2 shown]
	v_sub_f16_e32 v39, v32, v39
	v_sub_f16_e32 v30, v52, v30
	;; [unrolled: 1-line block ×4, first 2 shown]
	ds_write2_b32 v8, v18, v23 offset0:32 offset1:48
	v_and_or_b32 v8, v13, s4, v14
	v_fma_f16 v32, v32, 2.0, -v39
	v_fma_f16 v52, v52, 2.0, -v30
	;; [unrolled: 1-line block ×4, first 2 shown]
	v_lshl_add_u32 v8, v8, 2, 0
	v_pack_b32_f16 v13, v19, v49
	v_pack_b32_f16 v18, v50, v25
	v_sub_f16_e32 v38, v32, v38
	v_sub_f16_e32 v29, v52, v29
	v_add_f16_e32 v21, v39, v21
	v_sub_f16_e32 v40, v30, v40
	v_lshrrev_b32_e32 v53, 16, v33
	ds_write2_b32 v8, v13, v18 offset1:16
	v_pack_b32_f16 v13, v51, v28
	v_pack_b32_f16 v18, v20, v48
	s_movk_i32 s4, 0x5c0
	v_fma_f16 v32, v32, 2.0, -v38
	v_fma_f16 v52, v52, 2.0, -v29
	v_fma_f16 v39, v39, 2.0, -v21
	v_fma_f16 v30, v30, 2.0, -v40
	v_sub_f16_e32 v42, v33, v42
	v_sub_f16_e32 v31, v53, v31
	;; [unrolled: 1-line block ×4, first 2 shown]
	ds_write2_b32 v8, v13, v18 offset0:32 offset1:48
	v_and_or_b32 v8, v12, s4, v14
	v_fma_f16 v33, v33, 2.0, -v42
	v_fma_f16 v53, v53, 2.0, -v31
	;; [unrolled: 1-line block ×4, first 2 shown]
	v_lshl_add_u32 v8, v8, 2, 0
	v_pack_b32_f16 v12, v32, v52
	v_pack_b32_f16 v13, v39, v30
	v_sub_f16_e32 v41, v33, v41
	v_sub_f16_e32 v34, v53, v34
	v_add_f16_e32 v36, v42, v36
	v_sub_f16_e32 v43, v31, v43
	ds_write2_b32 v8, v12, v13 offset1:16
	v_pack_b32_f16 v12, v38, v29
	v_pack_b32_f16 v13, v21, v40
	s_movk_i32 s4, 0x7c0
	v_fma_f16 v33, v33, 2.0, -v41
	v_fma_f16 v53, v53, 2.0, -v34
	;; [unrolled: 1-line block ×4, first 2 shown]
	v_sub_f16_e32 v35, v22, v35
	v_sub_f16_e32 v16, v54, v16
	;; [unrolled: 1-line block ×4, first 2 shown]
	ds_write2_b32 v8, v12, v13 offset0:32 offset1:48
	v_and_or_b32 v8, v11, s4, v14
	v_fma_f16 v22, v22, 2.0, -v35
	v_fma_f16 v54, v54, 2.0, -v16
	;; [unrolled: 1-line block ×4, first 2 shown]
	v_lshl_add_u32 v8, v8, 2, 0
	v_pack_b32_f16 v11, v33, v53
	v_pack_b32_f16 v12, v42, v31
	v_sub_f16_e32 v44, v22, v44
	v_sub_f16_e32 v15, v54, v15
	v_add_f16_e32 v17, v35, v17
	v_sub_f16_e32 v26, v16, v26
	ds_write2_b32 v8, v11, v12 offset1:16
	v_pack_b32_f16 v11, v41, v34
	v_pack_b32_f16 v12, v36, v43
	s_movk_i32 s4, 0x9c0
	v_fma_f16 v22, v22, 2.0, -v44
	v_fma_f16 v54, v54, 2.0, -v15
	;; [unrolled: 1-line block ×4, first 2 shown]
	ds_write2_b32 v8, v11, v12 offset0:32 offset1:48
	v_and_or_b32 v8, v9, s4, v14
	v_lshl_add_u32 v8, v8, 2, 0
	v_pack_b32_f16 v9, v22, v54
	v_pack_b32_f16 v11, v35, v16
	ds_write2_b32 v8, v9, v11 offset1:16
	v_pack_b32_f16 v9, v44, v15
	v_pack_b32_f16 v11, v17, v26
	ds_write2_b32 v8, v9, v11 offset0:32 offset1:48
	v_mul_u32_u24_e32 v8, 9, v0
	v_lshlrev_b32_e32 v11, 2, v8
	s_waitcnt lgkmcnt(0)
	s_barrier
	global_load_dwordx4 v[18:21], v11, s[12:13] offset:240
	global_load_dwordx4 v[26:29], v11, s[12:13] offset:256
	global_load_dword v44, v11, s[12:13] offset:272
	ds_read2st64_b32 v[8:9], v10 offset1:2
	ds_read2st64_b32 v[13:14], v10 offset0:4 offset1:6
	ds_read2st64_b32 v[15:16], v10 offset0:8 offset1:10
	;; [unrolled: 1-line block ×9, first 2 shown]
	s_waitcnt lgkmcnt(8)
	v_lshrrev_b32_e32 v23, 16, v13
	v_lshrrev_b32_e32 v12, 16, v14
	s_waitcnt lgkmcnt(7)
	v_lshrrev_b32_e32 v48, 16, v16
	s_waitcnt lgkmcnt(4)
	v_lshrrev_b32_e32 v17, 16, v34
	v_lshrrev_b32_e32 v49, 16, v31
	s_waitcnt lgkmcnt(3)
	v_lshrrev_b32_e32 v22, 16, v36
	;; [unrolled: 3-line block ×3, first 2 shown]
	s_waitcnt lgkmcnt(0)
	v_lshrrev_b32_e32 v47, 16, v42
	v_lshrrev_b32_e32 v24, 16, v38
	;; [unrolled: 1-line block ×7, first 2 shown]
	s_mov_b32 s4, 0xb8b4
	v_lshrrev_b32_e32 v45, 16, v8
	v_lshrrev_b32_e32 v11, 16, v9
	s_waitcnt vmcnt(0)
	s_barrier
	v_mul_f16_sdwa v25, v18, v23 dst_sel:DWORD dst_unused:UNUSED_PAD src0_sel:WORD_1 src1_sel:DWORD
	v_fma_f16 v56, v18, v13, v25
	v_mul_f16_sdwa v13, v18, v13 dst_sel:DWORD dst_unused:UNUSED_PAD src0_sel:WORD_1 src1_sel:DWORD
	v_fma_f16 v23, v18, v23, -v13
	v_lshrrev_b32_e32 v13, 16, v15
	v_mul_f16_sdwa v25, v19, v13 dst_sel:DWORD dst_unused:UNUSED_PAD src0_sel:WORD_1 src1_sel:DWORD
	v_fma_f16 v57, v19, v15, v25
	v_mul_f16_sdwa v15, v19, v15 dst_sel:DWORD dst_unused:UNUSED_PAD src0_sel:WORD_1 src1_sel:DWORD
	v_fma_f16 v58, v19, v13, -v15
	v_lshrrev_b32_e32 v13, 16, v30
	v_mul_f16_sdwa v15, v20, v13 dst_sel:DWORD dst_unused:UNUSED_PAD src0_sel:WORD_1 src1_sel:DWORD
	v_fma_f16 v59, v20, v30, v15
	v_mul_f16_sdwa v15, v20, v30 dst_sel:DWORD dst_unused:UNUSED_PAD src0_sel:WORD_1 src1_sel:DWORD
	v_fma_f16 v25, v20, v13, -v15
	v_mul_f16_sdwa v13, v12, v18 dst_sel:DWORD dst_unused:UNUSED_PAD src0_sel:DWORD src1_sel:WORD_1
	v_lshrrev_b32_e32 v15, 16, v32
	v_fma_f16 v13, v14, v18, v13
	v_mul_f16_sdwa v14, v14, v18 dst_sel:DWORD dst_unused:UNUSED_PAD src0_sel:DWORD src1_sel:WORD_1
	v_mul_f16_sdwa v30, v21, v32 dst_sel:DWORD dst_unused:UNUSED_PAD src0_sel:WORD_1 src1_sel:DWORD
	v_fma_f16 v30, v21, v15, -v30
	v_mul_f16_sdwa v15, v21, v15 dst_sel:DWORD dst_unused:UNUSED_PAD src0_sel:WORD_1 src1_sel:DWORD
	v_fma_f16 v12, v12, v18, -v14
	v_mul_f16_sdwa v14, v48, v19 dst_sel:DWORD dst_unused:UNUSED_PAD src0_sel:DWORD src1_sel:WORD_1
	v_fma_f16 v32, v21, v32, v15
	v_fma_f16 v18, v16, v19, v14
	v_mul_f16_sdwa v14, v16, v19 dst_sel:DWORD dst_unused:UNUSED_PAD src0_sel:DWORD src1_sel:WORD_1
	v_mul_f16_sdwa v15, v34, v26 dst_sel:DWORD dst_unused:UNUSED_PAD src0_sel:DWORD src1_sel:WORD_1
	v_fma_f16 v60, v17, v26, -v15
	v_mul_f16_sdwa v15, v17, v26 dst_sel:DWORD dst_unused:UNUSED_PAD src0_sel:DWORD src1_sel:WORD_1
	v_fma_f16 v16, v48, v19, -v14
	v_mul_f16_sdwa v14, v49, v20 dst_sel:DWORD dst_unused:UNUSED_PAD src0_sel:DWORD src1_sel:WORD_1
	v_mul_f16_sdwa v17, v36, v27 dst_sel:DWORD dst_unused:UNUSED_PAD src0_sel:DWORD src1_sel:WORD_1
	v_fma_f16 v34, v34, v26, v15
	v_fma_f16 v15, v31, v20, v14
	v_mul_f16_sdwa v14, v31, v20 dst_sel:DWORD dst_unused:UNUSED_PAD src0_sel:DWORD src1_sel:WORD_1
	v_fma_f16 v31, v22, v27, -v17
	v_mul_f16_sdwa v17, v22, v27 dst_sel:DWORD dst_unused:UNUSED_PAD src0_sel:DWORD src1_sel:WORD_1
	v_fma_f16 v36, v36, v27, v17
	v_mul_f16_sdwa v17, v50, v21 dst_sel:DWORD dst_unused:UNUSED_PAD src0_sel:DWORD src1_sel:WORD_1
	v_fma_f16 v22, v33, v21, v17
	v_mul_f16_sdwa v17, v33, v21 dst_sel:DWORD dst_unused:UNUSED_PAD src0_sel:DWORD src1_sel:WORD_1
	v_fma_f16 v14, v49, v20, -v14
	v_fma_f16 v20, v50, v21, -v17
	v_mul_f16_sdwa v17, v46, v29 dst_sel:DWORD dst_unused:UNUSED_PAD src0_sel:DWORD src1_sel:WORD_1
	v_fma_f16 v49, v40, v29, v17
	v_mul_f16_sdwa v17, v40, v29 dst_sel:DWORD dst_unused:UNUSED_PAD src0_sel:DWORD src1_sel:WORD_1
	v_fma_f16 v40, v46, v29, -v17
	v_mul_f16_sdwa v17, v47, v44 dst_sel:DWORD dst_unused:UNUSED_PAD src0_sel:DWORD src1_sel:WORD_1
	v_mul_f16_sdwa v19, v38, v28 dst_sel:DWORD dst_unused:UNUSED_PAD src0_sel:DWORD src1_sel:WORD_1
	v_fma_f16 v46, v42, v44, v17
	v_mul_f16_sdwa v17, v42, v44 dst_sel:DWORD dst_unused:UNUSED_PAD src0_sel:DWORD src1_sel:WORD_1
	v_fma_f16 v33, v24, v28, -v19
	v_mul_f16_sdwa v19, v24, v28 dst_sel:DWORD dst_unused:UNUSED_PAD src0_sel:DWORD src1_sel:WORD_1
	v_fma_f16 v42, v47, v44, -v17
	v_mul_f16_sdwa v17, v51, v26 dst_sel:DWORD dst_unused:UNUSED_PAD src0_sel:DWORD src1_sel:WORD_1
	v_fma_f16 v48, v38, v28, v19
	v_fma_f16 v19, v35, v26, v17
	v_mul_f16_sdwa v17, v35, v26 dst_sel:DWORD dst_unused:UNUSED_PAD src0_sel:DWORD src1_sel:WORD_1
	v_mul_f16_sdwa v21, v52, v27 dst_sel:DWORD dst_unused:UNUSED_PAD src0_sel:DWORD src1_sel:WORD_1
	v_fma_f16 v17, v51, v26, -v17
	v_fma_f16 v38, v37, v27, v21
	v_mul_f16_sdwa v21, v37, v27 dst_sel:DWORD dst_unused:UNUSED_PAD src0_sel:DWORD src1_sel:WORD_1
	v_mul_f16_sdwa v26, v54, v29 dst_sel:DWORD dst_unused:UNUSED_PAD src0_sel:DWORD src1_sel:WORD_1
	v_fma_f16 v27, v52, v27, -v21
	v_mul_f16_sdwa v21, v53, v28 dst_sel:DWORD dst_unused:UNUSED_PAD src0_sel:DWORD src1_sel:WORD_1
	v_fma_f16 v50, v41, v29, v26
	v_mul_f16_sdwa v26, v41, v29 dst_sel:DWORD dst_unused:UNUSED_PAD src0_sel:DWORD src1_sel:WORD_1
	v_fma_f16 v24, v39, v28, v21
	v_mul_f16_sdwa v21, v39, v28 dst_sel:DWORD dst_unused:UNUSED_PAD src0_sel:DWORD src1_sel:WORD_1
	v_fma_f16 v51, v54, v29, -v26
	v_mul_f16_sdwa v26, v55, v44 dst_sel:DWORD dst_unused:UNUSED_PAD src0_sel:DWORD src1_sel:WORD_1
	v_add_f16_e32 v35, v32, v36
	v_fma_f16 v21, v53, v28, -v21
	v_fma_f16 v28, v43, v44, v26
	v_mul_f16_sdwa v26, v43, v44 dst_sel:DWORD dst_unused:UNUSED_PAD src0_sel:DWORD src1_sel:WORD_1
	v_fma_f16 v35, v35, -0.5, v8
	v_sub_f16_e32 v37, v58, v40
	v_fma_f16 v26, v55, v44, -v26
	v_fma_f16 v39, v37, s5, v35
	v_sub_f16_e32 v41, v30, v31
	v_sub_f16_e32 v43, v57, v32
	;; [unrolled: 1-line block ×3, first 2 shown]
	v_fma_f16 v39, v41, s4, v39
	v_add_f16_e32 v43, v43, v44
	v_fma_f16 v52, v43, s8, v39
	v_add_f16_e32 v39, v57, v49
	v_add_f16_e32 v29, v8, v57
	v_fma_f16 v8, v39, -0.5, v8
	v_fma_f16 v35, v37, s7, v35
	v_fma_f16 v39, v41, s7, v8
	;; [unrolled: 1-line block ×6, first 2 shown]
	v_add_f16_e32 v37, v45, v58
	v_fma_f16 v35, v43, s8, v35
	v_sub_f16_e32 v43, v32, v57
	v_sub_f16_e32 v44, v36, v49
	v_add_f16_e32 v37, v37, v30
	v_add_f16_e32 v43, v43, v44
	;; [unrolled: 1-line block ×3, first 2 shown]
	v_fma_f16 v53, v43, s8, v39
	v_fma_f16 v8, v43, s8, v8
	v_add_f16_e32 v43, v37, v40
	v_add_f16_e32 v37, v30, v31
	v_fma_f16 v37, v37, -0.5, v45
	v_sub_f16_e32 v39, v57, v49
	v_add_f16_e32 v29, v29, v32
	v_fma_f16 v41, v39, s7, v37
	v_sub_f16_e32 v32, v32, v36
	v_add_f16_e32 v29, v29, v36
	v_fma_f16 v36, v32, s6, v41
	v_sub_f16_e32 v41, v58, v30
	v_sub_f16_e32 v44, v40, v31
	v_fma_f16 v37, v39, s5, v37
	v_add_f16_e32 v41, v41, v44
	v_fma_f16 v37, v32, s4, v37
	v_fma_f16 v54, v41, s8, v37
	v_add_f16_e32 v37, v58, v40
	v_fma_f16 v37, v37, -0.5, v45
	v_sub_f16_e32 v30, v30, v58
	v_sub_f16_e32 v31, v31, v40
	v_add_f16_e32 v30, v30, v31
	v_fma_f16 v31, v32, s7, v37
	v_fma_f16 v31, v39, s4, v31
	;; [unrolled: 1-line block ×5, first 2 shown]
	v_add_f16_e32 v31, v34, v48
	v_fma_f16 v41, v39, s6, v41
	v_fma_f16 v31, v31, -0.5, v56
	v_sub_f16_e32 v32, v25, v42
	v_fma_f16 v55, v30, s8, v41
	v_fma_f16 v37, v32, s5, v31
	v_sub_f16_e32 v39, v60, v33
	v_sub_f16_e32 v40, v59, v34
	;; [unrolled: 1-line block ×3, first 2 shown]
	v_fma_f16 v37, v39, s4, v37
	v_add_f16_e32 v40, v40, v41
	v_fma_f16 v44, v40, s8, v37
	v_fma_f16 v31, v32, s7, v31
	v_add_f16_e32 v37, v59, v46
	v_fma_f16 v31, v39, s6, v31
	v_fma_f16 v37, v37, -0.5, v56
	v_fma_f16 v31, v40, s8, v31
	v_fma_f16 v40, v39, s7, v37
	v_fma_f16 v37, v39, s5, v37
	v_fma_f16 v40, v32, s4, v40
	v_fma_f16 v32, v32, s6, v37
	v_add_f16_e32 v37, v23, v25
	v_add_f16_e32 v37, v37, v60
	;; [unrolled: 1-line block ×5, first 2 shown]
	v_sub_f16_e32 v41, v34, v59
	v_sub_f16_e32 v45, v48, v46
	v_add_f16_e32 v56, v37, v42
	v_add_f16_e32 v37, v60, v33
	v_add_f16_e32 v30, v30, v48
	v_add_f16_e32 v41, v41, v45
	v_fma_f16 v37, v37, -0.5, v23
	v_sub_f16_e32 v39, v59, v46
	v_add_f16_e32 v30, v30, v46
	v_fma_f16 v40, v41, s8, v40
	v_fma_f16 v32, v41, s8, v32
	;; [unrolled: 1-line block ×3, first 2 shown]
	v_sub_f16_e32 v34, v34, v48
	v_sub_f16_e32 v45, v25, v60
	;; [unrolled: 1-line block ×3, first 2 shown]
	v_fma_f16 v37, v39, s5, v37
	v_add_f16_e32 v45, v45, v46
	v_fma_f16 v37, v34, s4, v37
	v_fma_f16 v58, v45, s8, v37
	v_add_f16_e32 v37, v25, v42
	v_fma_f16 v23, v37, -0.5, v23
	v_fma_f16 v37, v34, s5, v23
	v_sub_f16_e32 v25, v60, v25
	v_sub_f16_e32 v33, v33, v42
	v_fma_f16 v23, v34, s7, v23
	v_add_f16_e32 v25, v25, v33
	v_fma_f16 v23, v39, s4, v23
	v_fma_f16 v37, v39, s6, v37
	v_fma_f16 v23, v25, s8, v23
	v_fma_f16 v33, v25, s8, v37
	v_mul_f16_e32 v37, 0xbb9c, v23
	v_add_f16_e32 v29, v29, v49
	v_fma_f16 v41, v34, s6, v41
	v_mul_f16_e32 v34, 0xbb9c, v33
	v_fma_f16 v59, v32, s14, v37
	v_mul_f16_e32 v33, 0x34f2, v33
	v_fma_f16 v48, v45, s8, v41
	v_add_f16_e32 v46, v29, v30
	v_fma_f16 v34, v40, s8, v34
	v_add_f16_e32 v41, v8, v59
	v_fma_f16 v33, v40, s7, v33
	v_sub_f16_e32 v40, v29, v30
	v_sub_f16_e32 v29, v8, v59
	v_add_f16_e32 v8, v9, v18
	v_mul_f16_e32 v37, 0xb8b4, v58
	v_mul_f16_e32 v39, 0x3a79, v48
	;; [unrolled: 1-line block ×3, first 2 shown]
	v_add_f16_e32 v8, v8, v22
	v_mul_f16_e32 v25, 0xb8b4, v48
	v_fma_f16 v60, v31, s15, v37
	v_fma_f16 v61, v44, s6, v39
	;; [unrolled: 1-line block ×3, first 2 shown]
	v_add_f16_e32 v8, v8, v38
	v_fma_f16 v25, v44, s9, v25
	v_add_f16_e32 v37, v35, v60
	v_add_f16_e32 v48, v36, v61
	v_add_f16_e32 v45, v55, v33
	v_add_f16_e32 v44, v57, v23
	v_mul_f16_e32 v32, 0xba79, v58
	v_sub_f16_e32 v30, v35, v60
	v_sub_f16_e32 v35, v36, v61
	v_sub_f16_e32 v36, v55, v33
	v_sub_f16_e32 v33, v57, v23
	v_add_f16_e32 v23, v8, v50
	v_add_f16_e32 v8, v22, v38
	;; [unrolled: 1-line block ×3, first 2 shown]
	v_fma_f16 v58, v31, s6, v32
	v_sub_f16_e32 v31, v52, v25
	v_fma_f16 v8, v8, -0.5, v9
	v_sub_f16_e32 v25, v16, v51
	v_add_f16_e32 v42, v53, v34
	v_add_f16_e32 v39, v54, v58
	v_sub_f16_e32 v32, v53, v34
	v_sub_f16_e32 v34, v54, v58
	v_fma_f16 v52, v25, s5, v8
	v_sub_f16_e32 v53, v20, v27
	v_sub_f16_e32 v54, v18, v22
	;; [unrolled: 1-line block ×3, first 2 shown]
	v_fma_f16 v8, v25, s7, v8
	v_fma_f16 v52, v53, s4, v52
	v_add_f16_e32 v54, v54, v55
	v_fma_f16 v8, v53, s6, v8
	v_fma_f16 v52, v54, s8, v52
	;; [unrolled: 1-line block ×3, first 2 shown]
	v_add_f16_e32 v8, v18, v50
	v_fma_f16 v8, v8, -0.5, v9
	v_add_f16_e32 v49, v43, v56
	v_sub_f16_e32 v43, v43, v56
	v_fma_f16 v9, v53, s7, v8
	v_sub_f16_e32 v55, v22, v18
	v_sub_f16_e32 v56, v38, v50
	v_fma_f16 v8, v53, s5, v8
	v_add_f16_e32 v55, v55, v56
	v_fma_f16 v8, v25, s6, v8
	v_fma_f16 v9, v25, s4, v9
	;; [unrolled: 1-line block ×3, first 2 shown]
	v_add_f16_e32 v8, v11, v16
	v_add_f16_e32 v8, v8, v20
	;; [unrolled: 1-line block ×5, first 2 shown]
	v_fma_f16 v56, v55, s8, v9
	v_fma_f16 v8, v8, -0.5, v11
	v_sub_f16_e32 v9, v18, v50
	v_fma_f16 v18, v9, s7, v8
	v_sub_f16_e32 v22, v22, v38
	v_sub_f16_e32 v38, v16, v20
	;; [unrolled: 1-line block ×3, first 2 shown]
	v_fma_f16 v8, v9, s5, v8
	v_fma_f16 v18, v22, s6, v18
	v_add_f16_e32 v38, v38, v50
	v_fma_f16 v8, v22, s4, v8
	v_fma_f16 v50, v38, s8, v18
	;; [unrolled: 1-line block ×3, first 2 shown]
	v_add_f16_e32 v8, v16, v51
	v_fma_f16 v8, v8, -0.5, v11
	v_fma_f16 v11, v22, s5, v8
	v_sub_f16_e32 v16, v20, v16
	v_sub_f16_e32 v18, v27, v51
	v_fma_f16 v8, v22, s7, v8
	v_add_f16_e32 v16, v16, v18
	v_fma_f16 v8, v9, s4, v8
	v_fma_f16 v51, v16, s8, v8
	v_add_f16_e32 v8, v13, v15
	v_add_f16_e32 v8, v8, v19
	;; [unrolled: 1-line block ×5, first 2 shown]
	v_fma_f16 v11, v9, s6, v11
	v_fma_f16 v8, v8, -0.5, v13
	v_sub_f16_e32 v9, v14, v26
	v_fma_f16 v27, v16, s8, v11
	v_fma_f16 v11, v9, s5, v8
	v_sub_f16_e32 v16, v17, v21
	v_sub_f16_e32 v20, v15, v19
	v_sub_f16_e32 v22, v28, v24
	v_fma_f16 v8, v9, s7, v8
	v_fma_f16 v11, v16, s4, v11
	v_add_f16_e32 v20, v20, v22
	v_fma_f16 v8, v16, s6, v8
	v_fma_f16 v22, v20, s8, v11
	;; [unrolled: 1-line block ×3, first 2 shown]
	v_add_f16_e32 v8, v15, v28
	v_fma_f16 v8, v8, -0.5, v13
	v_fma_f16 v11, v16, s7, v8
	v_sub_f16_e32 v13, v19, v15
	v_sub_f16_e32 v55, v24, v28
	v_fma_f16 v8, v16, s5, v8
	v_add_f16_e32 v13, v13, v55
	v_fma_f16 v8, v9, s6, v8
	v_fma_f16 v57, v13, s8, v8
	v_add_f16_e32 v8, v12, v14
	v_add_f16_e32 v8, v8, v17
	;; [unrolled: 1-line block ×5, first 2 shown]
	v_fma_f16 v11, v9, s4, v11
	v_fma_f16 v8, v8, -0.5, v12
	v_sub_f16_e32 v9, v15, v28
	v_fma_f16 v55, v13, s8, v11
	v_fma_f16 v11, v9, s7, v8
	v_sub_f16_e32 v13, v19, v24
	v_sub_f16_e32 v15, v14, v17
	;; [unrolled: 1-line block ×3, first 2 shown]
	v_fma_f16 v8, v9, s5, v8
	v_add_f16_e32 v15, v15, v16
	v_fma_f16 v8, v13, s4, v8
	v_fma_f16 v24, v15, s8, v8
	v_add_f16_e32 v8, v14, v26
	v_fma_f16 v11, v13, s6, v11
	v_fma_f16 v8, v8, -0.5, v12
	v_fma_f16 v16, v15, s8, v11
	v_fma_f16 v11, v13, s5, v8
	v_sub_f16_e32 v12, v17, v14
	v_sub_f16_e32 v14, v21, v26
	v_fma_f16 v8, v13, s7, v8
	v_fma_f16 v11, v9, s6, v11
	v_add_f16_e32 v12, v12, v14
	v_fma_f16 v8, v9, s4, v8
	v_fma_f16 v17, v12, s8, v11
	;; [unrolled: 1-line block ×3, first 2 shown]
	v_mul_f16_e32 v9, 0xb8b4, v16
	v_mul_f16_e32 v11, 0xbb9c, v17
	;; [unrolled: 1-line block ×6, first 2 shown]
	v_fma_f16 v28, v57, s14, v12
	v_fma_f16 v57, v57, s7, v17
	v_mul_f16_e32 v17, 0xba79, v24
	v_fma_f16 v61, v20, s6, v17
	v_fma_f16 v21, v22, s9, v9
	v_add_f16_e32 v12, v25, v28
	v_fma_f16 v60, v22, s6, v15
	v_add_f16_e32 v22, v38, v61
	v_sub_f16_e32 v17, v25, v28
	v_sub_f16_e32 v25, v38, v61
	v_lshrrev_b32_e32 v38, 6, v5
	v_mul_u32_u24_e32 v38, 0x280, v38
	v_add_f16_e32 v8, v23, v18
	v_add_f16_e32 v9, v52, v21
	v_fma_f16 v26, v55, s8, v11
	v_mul_f16_e32 v13, 0xb8b4, v24
	v_add_f16_e32 v14, v53, v58
	v_add_f16_e32 v15, v50, v60
	v_fma_f16 v55, v55, s7, v16
	v_or_b32_e32 v38, v38, v0
	v_or_b32_e32 v0, v6, v0
	v_add_f16_e32 v11, v56, v26
	v_fma_f16 v59, v20, s15, v13
	v_add_f16_e32 v16, v27, v55
	v_add_f16_e32 v19, v51, v57
	v_lshl_add_u32 v38, v38, 2, 0
	v_pack_b32_f16 v46, v46, v49
	v_pack_b32_f16 v47, v47, v48
	;; [unrolled: 1-line block ×10, first 2 shown]
	v_lshl_add_u32 v0, v0, 2, 0
	v_pack_b32_f16 v6, v8, v14
	v_pack_b32_f16 v8, v9, v15
	v_add_f16_e32 v13, v54, v59
	v_sub_f16_e32 v23, v23, v18
	v_sub_f16_e32 v28, v53, v58
	ds_write2st64_b32 v38, v46, v47 offset1:1
	ds_write2st64_b32 v38, v42, v41 offset0:2 offset1:3
	ds_write2st64_b32 v38, v37, v39 offset0:4 offset1:5
	;; [unrolled: 1-line block ×4, first 2 shown]
	ds_write2st64_b32 v0, v6, v8 offset1:1
	v_pack_b32_f16 v6, v11, v16
	v_pack_b32_f16 v8, v12, v19
	v_sub_f16_e32 v20, v52, v21
	v_sub_f16_e32 v21, v56, v26
	;; [unrolled: 1-line block ×4, first 2 shown]
	ds_write2st64_b32 v0, v6, v8 offset0:2 offset1:3
	v_pack_b32_f16 v6, v13, v22
	v_pack_b32_f16 v8, v23, v28
	v_sub_f16_e32 v18, v54, v59
	v_sub_f16_e32 v24, v51, v57
	ds_write2st64_b32 v0, v6, v8 offset0:4 offset1:5
	v_pack_b32_f16 v6, v20, v26
	v_pack_b32_f16 v8, v21, v27
	ds_write2st64_b32 v0, v6, v8 offset0:6 offset1:7
	v_pack_b32_f16 v6, v17, v24
	v_pack_b32_f16 v8, v18, v25
	ds_write2st64_b32 v0, v6, v8 offset0:8 offset1:9
	v_mul_u32_u24_e32 v0, 3, v5
	v_lshlrev_b32_e32 v0, 2, v0
	s_waitcnt lgkmcnt(0)
	s_barrier
	global_load_dwordx3 v[11:13], v0, s[12:13] offset:2544
	global_load_dwordx3 v[14:16], v0, s[12:13] offset:4080
	v_mov_b32_e32 v6, s13
	v_add_co_u32_e32 v8, vcc, s12, v0
	v_addc_co_u32_e32 v6, vcc, 0, v6, vcc
	s_movk_i32 s4, 0x1000
	v_add_co_u32_e32 v8, vcc, s4, v8
	v_addc_co_u32_e32 v9, vcc, 0, v6, vcc
	global_load_dwordx3 v[17:19], v[8:9], off offset:1520
	global_load_dwordx3 v[20:22], v[8:9], off offset:3056
	v_add_u32_e32 v0, 0x1800, v0
	global_load_dwordx3 v[23:25], v0, s[12:13] offset:2544
	ds_read2st64_b32 v[8:9], v10 offset1:2
	ds_read2st64_b32 v[26:27], v10 offset0:8 offset1:10
	ds_read2st64_b32 v[28:29], v10 offset0:20 offset1:22
	;; [unrolled: 1-line block ×7, first 2 shown]
	s_waitcnt lgkmcnt(6)
	v_lshrrev_b32_e32 v56, 16, v27
	s_waitcnt lgkmcnt(5)
	v_lshrrev_b32_e32 v44, 16, v29
	;; [unrolled: 2-line block ×3, first 2 shown]
	ds_read2st64_b32 v[40:41], v10 offset0:16 offset1:18
	s_waitcnt lgkmcnt(2)
	v_lshrrev_b32_e32 v47, 16, v37
	s_waitcnt lgkmcnt(1)
	v_lshrrev_b32_e32 v48, 16, v38
	ds_read2st64_b32 v[42:43], v10 offset0:36 offset1:38
	v_lshrrev_b32_e32 v49, 16, v33
	s_waitcnt lgkmcnt(1)
	v_lshrrev_b32_e32 v51, 16, v40
	v_lshrrev_b32_e32 v52, 16, v39
	;; [unrolled: 1-line block ×3, first 2 shown]
	s_waitcnt lgkmcnt(0)
	v_lshrrev_b32_e32 v53, 16, v42
	v_lshrrev_b32_e32 v0, 16, v8
	;; [unrolled: 1-line block ×6, first 2 shown]
	s_waitcnt vmcnt(0)
	s_barrier
	v_mul_f16_sdwa v57, v11, v56 dst_sel:DWORD dst_unused:UNUSED_PAD src0_sel:WORD_1 src1_sel:DWORD
	v_fma_f16 v57, v11, v27, v57
	v_mul_f16_sdwa v27, v11, v27 dst_sel:DWORD dst_unused:UNUSED_PAD src0_sel:WORD_1 src1_sel:DWORD
	v_fma_f16 v11, v11, v56, -v27
	v_lshrrev_b32_e32 v27, 16, v28
	v_mul_f16_sdwa v56, v12, v27 dst_sel:DWORD dst_unused:UNUSED_PAD src0_sel:WORD_1 src1_sel:DWORD
	v_fma_f16 v56, v12, v28, v56
	v_mul_f16_sdwa v28, v12, v28 dst_sel:DWORD dst_unused:UNUSED_PAD src0_sel:WORD_1 src1_sel:DWORD
	v_fma_f16 v12, v12, v27, -v28
	v_lshrrev_b32_e32 v27, 16, v31
	v_mul_f16_sdwa v28, v13, v31 dst_sel:DWORD dst_unused:UNUSED_PAD src0_sel:WORD_1 src1_sel:DWORD
	v_fma_f16 v28, v13, v27, -v28
	v_mul_f16_sdwa v27, v13, v27 dst_sel:DWORD dst_unused:UNUSED_PAD src0_sel:WORD_1 src1_sel:DWORD
	v_fma_f16 v13, v13, v31, v27
	v_lshrrev_b32_e32 v31, 16, v36
	v_mul_f16_sdwa v58, v44, v15 dst_sel:DWORD dst_unused:UNUSED_PAD src0_sel:DWORD src1_sel:WORD_1
	v_mul_f16_sdwa v59, v14, v36 dst_sel:DWORD dst_unused:UNUSED_PAD src0_sel:WORD_1 src1_sel:DWORD
	v_fma_f16 v58, v29, v15, v58
	v_mul_f16_sdwa v29, v29, v15 dst_sel:DWORD dst_unused:UNUSED_PAD src0_sel:DWORD src1_sel:WORD_1
	v_fma_f16 v59, v14, v31, -v59
	v_mul_f16_sdwa v31, v14, v31 dst_sel:DWORD dst_unused:UNUSED_PAD src0_sel:WORD_1 src1_sel:DWORD
	v_fma_f16 v14, v14, v36, v31
	v_fma_f16 v15, v44, v15, -v29
	v_mul_f16_sdwa v29, v32, v16 dst_sel:DWORD dst_unused:UNUSED_PAD src0_sel:DWORD src1_sel:WORD_1
	v_mul_f16_sdwa v31, v45, v16 dst_sel:DWORD dst_unused:UNUSED_PAD src0_sel:DWORD src1_sel:WORD_1
	v_fma_f16 v29, v45, v16, -v29
	v_fma_f16 v16, v32, v16, v31
	v_mul_f16_sdwa v32, v47, v17 dst_sel:DWORD dst_unused:UNUSED_PAD src0_sel:DWORD src1_sel:WORD_1
	v_mul_f16_sdwa v36, v37, v17 dst_sel:DWORD dst_unused:UNUSED_PAD src0_sel:DWORD src1_sel:WORD_1
	v_fma_f16 v32, v37, v17, v32
	v_fma_f16 v17, v47, v17, -v36
	v_mul_f16_sdwa v36, v48, v18 dst_sel:DWORD dst_unused:UNUSED_PAD src0_sel:DWORD src1_sel:WORD_1
	v_mul_f16_sdwa v37, v38, v18 dst_sel:DWORD dst_unused:UNUSED_PAD src0_sel:DWORD src1_sel:WORD_1
	v_fma_f16 v36, v38, v18, v36
	v_fma_f16 v18, v48, v18, -v37
	v_mul_f16_sdwa v37, v49, v19 dst_sel:DWORD dst_unused:UNUSED_PAD src0_sel:DWORD src1_sel:WORD_1
	v_fma_f16 v37, v33, v19, v37
	v_mul_f16_sdwa v33, v33, v19 dst_sel:DWORD dst_unused:UNUSED_PAD src0_sel:DWORD src1_sel:WORD_1
	v_fma_f16 v19, v49, v19, -v33
	v_mul_f16_sdwa v33, v51, v20 dst_sel:DWORD dst_unused:UNUSED_PAD src0_sel:DWORD src1_sel:WORD_1
	v_mul_f16_sdwa v38, v40, v20 dst_sel:DWORD dst_unused:UNUSED_PAD src0_sel:DWORD src1_sel:WORD_1
	v_fma_f16 v33, v40, v20, v33
	v_fma_f16 v20, v51, v20, -v38
	v_mul_f16_sdwa v38, v52, v21 dst_sel:DWORD dst_unused:UNUSED_PAD src0_sel:DWORD src1_sel:WORD_1
	v_fma_f16 v38, v39, v21, v38
	v_mul_f16_sdwa v39, v39, v21 dst_sel:DWORD dst_unused:UNUSED_PAD src0_sel:DWORD src1_sel:WORD_1
	v_fma_f16 v21, v52, v21, -v39
	v_mul_f16_sdwa v39, v53, v22 dst_sel:DWORD dst_unused:UNUSED_PAD src0_sel:DWORD src1_sel:WORD_1
	v_mul_f16_sdwa v40, v42, v22 dst_sel:DWORD dst_unused:UNUSED_PAD src0_sel:DWORD src1_sel:WORD_1
	v_fma_f16 v39, v42, v22, v39
	v_fma_f16 v22, v53, v22, -v40
	v_mul_f16_sdwa v40, v55, v23 dst_sel:DWORD dst_unused:UNUSED_PAD src0_sel:DWORD src1_sel:WORD_1
	v_lshrrev_b32_e32 v27, 16, v30
	v_fma_f16 v40, v41, v23, v40
	v_mul_f16_sdwa v41, v41, v23 dst_sel:DWORD dst_unused:UNUSED_PAD src0_sel:DWORD src1_sel:WORD_1
	v_fma_f16 v23, v55, v23, -v41
	v_mul_f16_sdwa v41, v27, v24 dst_sel:DWORD dst_unused:UNUSED_PAD src0_sel:DWORD src1_sel:WORD_1
	v_lshrrev_b32_e32 v31, 16, v43
	v_fma_f16 v41, v30, v24, v41
	v_mul_f16_sdwa v30, v30, v24 dst_sel:DWORD dst_unused:UNUSED_PAD src0_sel:DWORD src1_sel:WORD_1
	v_fma_f16 v24, v27, v24, -v30
	v_mul_f16_sdwa v27, v31, v25 dst_sel:DWORD dst_unused:UNUSED_PAD src0_sel:DWORD src1_sel:WORD_1
	v_mul_f16_sdwa v30, v43, v25 dst_sel:DWORD dst_unused:UNUSED_PAD src0_sel:DWORD src1_sel:WORD_1
	v_fma_f16 v27, v43, v25, v27
	v_fma_f16 v25, v31, v25, -v30
	v_sub_f16_e32 v30, v8, v56
	v_sub_f16_e32 v12, v0, v12
	;; [unrolled: 1-line block ×8, first 2 shown]
	v_fma_f16 v8, v8, 2.0, -v30
	v_fma_f16 v0, v0, 2.0, -v12
	;; [unrolled: 1-line block ×8, first 2 shown]
	v_sub_f16_e32 v31, v8, v31
	v_sub_f16_e32 v11, v0, v11
	v_sub_f16_e32 v14, v9, v14
	v_sub_f16_e32 v43, v6, v43
	v_fma_f16 v8, v8, 2.0, -v31
	v_fma_f16 v0, v0, 2.0, -v11
	;; [unrolled: 1-line block ×4, first 2 shown]
	v_sub_f16_e32 v36, v34, v36
	v_sub_f16_e32 v18, v46, v18
	;; [unrolled: 1-line block ×4, first 2 shown]
	v_add_f16_e32 v29, v42, v29
	v_sub_f16_e32 v16, v15, v16
	v_fma_f16 v32, v32, 2.0, -v37
	v_fma_f16 v17, v17, 2.0, -v19
	v_add_f16_e32 v19, v36, v19
	v_sub_f16_e32 v37, v18, v37
	v_sub_f16_e32 v38, v35, v38
	;; [unrolled: 1-line block ×5, first 2 shown]
	v_pack_b32_f16 v0, v8, v0
	v_pack_b32_f16 v6, v9, v6
	v_fma_f16 v42, v42, 2.0, -v29
	v_fma_f16 v15, v15, 2.0, -v16
	;; [unrolled: 1-line block ×10, first 2 shown]
	v_pack_b32_f16 v11, v31, v11
	ds_write2st64_b32 v10, v0, v6 offset1:2
	v_pack_b32_f16 v6, v14, v43
	v_sub_f16_e32 v32, v34, v32
	v_sub_f16_e32 v17, v44, v17
	;; [unrolled: 1-line block ×8, first 2 shown]
	v_pack_b32_f16 v0, v42, v15
	ds_write2st64_b32 v10, v11, v6 offset0:20 offset1:22
	v_pack_b32_f16 v11, v36, v18
	v_fma_f16 v34, v34, 2.0, -v32
	v_fma_f16 v44, v44, 2.0, -v17
	;; [unrolled: 1-line block ×8, first 2 shown]
	v_pack_b32_f16 v6, v29, v16
	ds_write2st64_b32 v10, v0, v11 offset0:12 offset1:14
	v_pack_b32_f16 v11, v19, v37
	v_add_f16_e32 v28, v30, v28
	v_sub_f16_e32 v13, v12, v13
	v_sub_f16_e32 v40, v26, v40
	;; [unrolled: 1-line block ×3, first 2 shown]
	v_pack_b32_f16 v9, v34, v44
	ds_write2st64_b32 v10, v6, v11 offset0:32 offset1:34
	v_pack_b32_f16 v6, v35, v45
	v_fma_f16 v30, v30, 2.0, -v28
	v_fma_f16 v12, v12, 2.0, -v13
	v_add_f16_e32 v22, v38, v22
	v_sub_f16_e32 v39, v21, v39
	v_fma_f16 v26, v26, 2.0, -v40
	v_fma_f16 v46, v46, 2.0, -v23
	v_add_f16_e32 v25, v41, v25
	v_sub_f16_e32 v27, v24, v27
	v_pack_b32_f16 v0, v32, v17
	ds_write2st64_b32 v10, v9, v6 offset0:4 offset1:6
	v_pack_b32_f16 v9, v33, v20
	v_fma_f16 v38, v38, 2.0, -v22
	v_fma_f16 v21, v21, 2.0, -v39
	;; [unrolled: 1-line block ×4, first 2 shown]
	v_pack_b32_f16 v8, v30, v12
	ds_write2st64_b32 v10, v0, v9 offset0:24 offset1:26
	v_pack_b32_f16 v9, v26, v46
	v_pack_b32_f16 v6, v38, v21
	ds_write2st64_b32 v10, v9, v8 offset0:8 offset1:10
	v_pack_b32_f16 v8, v41, v24
	;; [unrolled: 3-line block ×4, first 2 shown]
	ds_write2st64_b32 v10, v0, v6 offset0:36 offset1:38
	s_waitcnt lgkmcnt(0)
	s_barrier
	s_and_saveexec_b64 s[4:5], s[0:1]
	s_cbranch_execz .LBB0_21
; %bb.20:
	v_mul_lo_u32 v0, s3, v3
	v_mul_lo_u32 v6, s2, v4
	v_mad_u64_u32 v[3:4], s[0:1], s2, v3, 0
	v_lshl_add_u32 v10, v5, 2, 0
	ds_read2st64_b32 v[8:9], v10 offset1:2
	v_add3_u32 v4, v4, v6, v0
	v_lshlrev_b64 v[3:4], 2, v[3:4]
	v_mov_b32_e32 v0, s11
	v_add_co_u32_e32 v3, vcc, s10, v3
	v_addc_co_u32_e32 v4, vcc, v0, v4, vcc
	v_lshlrev_b64 v[0:1], 2, v[1:2]
	v_mov_b32_e32 v6, v7
	v_add_co_u32_e32 v11, vcc, v3, v0
	v_addc_co_u32_e32 v4, vcc, v4, v1, vcc
	v_lshlrev_b64 v[0:1], 2, v[5:6]
	v_add_u32_e32 v6, 0x80, v5
	v_add_co_u32_e32 v0, vcc, v11, v0
	v_addc_co_u32_e32 v1, vcc, v4, v1, vcc
	s_waitcnt lgkmcnt(0)
	global_store_dword v[0:1], v8, off
	v_lshlrev_b64 v[0:1], 2, v[6:7]
	v_add_u32_e32 v6, 0x100, v5
	v_add_co_u32_e32 v0, vcc, v11, v0
	v_addc_co_u32_e32 v1, vcc, v4, v1, vcc
	global_store_dword v[0:1], v9, off
	ds_read2st64_b32 v[0:1], v10 offset0:4 offset1:6
	v_lshlrev_b64 v[2:3], 2, v[6:7]
	v_add_u32_e32 v6, 0x180, v5
	v_add_co_u32_e32 v2, vcc, v11, v2
	v_addc_co_u32_e32 v3, vcc, v4, v3, vcc
	s_waitcnt lgkmcnt(0)
	global_store_dword v[2:3], v0, off
	v_lshlrev_b64 v[2:3], 2, v[6:7]
	v_add_u32_e32 v6, 0x200, v5
	v_add_co_u32_e32 v2, vcc, v11, v2
	v_addc_co_u32_e32 v3, vcc, v4, v3, vcc
	global_store_dword v[2:3], v1, off
	ds_read2st64_b32 v[0:1], v10 offset0:8 offset1:10
	;; [unrolled: 12-line block ×9, first 2 shown]
	v_lshlrev_b64 v[2:3], 2, v[6:7]
	v_add_u32_e32 v6, 0x980, v5
	v_add_co_u32_e32 v2, vcc, v11, v2
	v_addc_co_u32_e32 v3, vcc, v4, v3, vcc
	s_waitcnt lgkmcnt(0)
	global_store_dword v[2:3], v0, off
	v_lshlrev_b64 v[2:3], 2, v[6:7]
	v_add_co_u32_e32 v2, vcc, v11, v2
	v_addc_co_u32_e32 v3, vcc, v4, v3, vcc
	global_store_dword v[2:3], v1, off
.LBB0_21:
	s_endpgm
	.section	.rodata,"a",@progbits
	.p2align	6, 0x0
	.amdhsa_kernel fft_rtc_back_len2560_factors_4_4_4_10_4_wgs_128_tpt_128_halfLds_half_op_CI_CI_unitstride_sbrr_C2R_dirReg
		.amdhsa_group_segment_fixed_size 0
		.amdhsa_private_segment_fixed_size 0
		.amdhsa_kernarg_size 104
		.amdhsa_user_sgpr_count 6
		.amdhsa_user_sgpr_private_segment_buffer 1
		.amdhsa_user_sgpr_dispatch_ptr 0
		.amdhsa_user_sgpr_queue_ptr 0
		.amdhsa_user_sgpr_kernarg_segment_ptr 1
		.amdhsa_user_sgpr_dispatch_id 0
		.amdhsa_user_sgpr_flat_scratch_init 0
		.amdhsa_user_sgpr_private_segment_size 0
		.amdhsa_uses_dynamic_stack 0
		.amdhsa_system_sgpr_private_segment_wavefront_offset 0
		.amdhsa_system_sgpr_workgroup_id_x 1
		.amdhsa_system_sgpr_workgroup_id_y 0
		.amdhsa_system_sgpr_workgroup_id_z 0
		.amdhsa_system_sgpr_workgroup_info 0
		.amdhsa_system_vgpr_workitem_id 0
		.amdhsa_next_free_vgpr 62
		.amdhsa_next_free_sgpr 28
		.amdhsa_reserve_vcc 1
		.amdhsa_reserve_flat_scratch 0
		.amdhsa_float_round_mode_32 0
		.amdhsa_float_round_mode_16_64 0
		.amdhsa_float_denorm_mode_32 3
		.amdhsa_float_denorm_mode_16_64 3
		.amdhsa_dx10_clamp 1
		.amdhsa_ieee_mode 1
		.amdhsa_fp16_overflow 0
		.amdhsa_exception_fp_ieee_invalid_op 0
		.amdhsa_exception_fp_denorm_src 0
		.amdhsa_exception_fp_ieee_div_zero 0
		.amdhsa_exception_fp_ieee_overflow 0
		.amdhsa_exception_fp_ieee_underflow 0
		.amdhsa_exception_fp_ieee_inexact 0
		.amdhsa_exception_int_div_zero 0
	.end_amdhsa_kernel
	.text
.Lfunc_end0:
	.size	fft_rtc_back_len2560_factors_4_4_4_10_4_wgs_128_tpt_128_halfLds_half_op_CI_CI_unitstride_sbrr_C2R_dirReg, .Lfunc_end0-fft_rtc_back_len2560_factors_4_4_4_10_4_wgs_128_tpt_128_halfLds_half_op_CI_CI_unitstride_sbrr_C2R_dirReg
                                        ; -- End function
	.section	.AMDGPU.csdata,"",@progbits
; Kernel info:
; codeLenInByte = 12808
; NumSgprs: 32
; NumVgprs: 62
; ScratchSize: 0
; MemoryBound: 0
; FloatMode: 240
; IeeeMode: 1
; LDSByteSize: 0 bytes/workgroup (compile time only)
; SGPRBlocks: 3
; VGPRBlocks: 15
; NumSGPRsForWavesPerEU: 32
; NumVGPRsForWavesPerEU: 62
; Occupancy: 4
; WaveLimiterHint : 1
; COMPUTE_PGM_RSRC2:SCRATCH_EN: 0
; COMPUTE_PGM_RSRC2:USER_SGPR: 6
; COMPUTE_PGM_RSRC2:TRAP_HANDLER: 0
; COMPUTE_PGM_RSRC2:TGID_X_EN: 1
; COMPUTE_PGM_RSRC2:TGID_Y_EN: 0
; COMPUTE_PGM_RSRC2:TGID_Z_EN: 0
; COMPUTE_PGM_RSRC2:TIDIG_COMP_CNT: 0
	.type	__hip_cuid_c1f80c398b18c2c1,@object ; @__hip_cuid_c1f80c398b18c2c1
	.section	.bss,"aw",@nobits
	.globl	__hip_cuid_c1f80c398b18c2c1
__hip_cuid_c1f80c398b18c2c1:
	.byte	0                               ; 0x0
	.size	__hip_cuid_c1f80c398b18c2c1, 1

	.ident	"AMD clang version 19.0.0git (https://github.com/RadeonOpenCompute/llvm-project roc-6.4.0 25133 c7fe45cf4b819c5991fe208aaa96edf142730f1d)"
	.section	".note.GNU-stack","",@progbits
	.addrsig
	.addrsig_sym __hip_cuid_c1f80c398b18c2c1
	.amdgpu_metadata
---
amdhsa.kernels:
  - .args:
      - .actual_access:  read_only
        .address_space:  global
        .offset:         0
        .size:           8
        .value_kind:     global_buffer
      - .offset:         8
        .size:           8
        .value_kind:     by_value
      - .actual_access:  read_only
        .address_space:  global
        .offset:         16
        .size:           8
        .value_kind:     global_buffer
      - .actual_access:  read_only
        .address_space:  global
        .offset:         24
        .size:           8
        .value_kind:     global_buffer
      - .actual_access:  read_only
        .address_space:  global
        .offset:         32
        .size:           8
        .value_kind:     global_buffer
      - .offset:         40
        .size:           8
        .value_kind:     by_value
      - .actual_access:  read_only
        .address_space:  global
        .offset:         48
        .size:           8
        .value_kind:     global_buffer
      - .actual_access:  read_only
        .address_space:  global
        .offset:         56
        .size:           8
        .value_kind:     global_buffer
      - .offset:         64
        .size:           4
        .value_kind:     by_value
      - .actual_access:  read_only
        .address_space:  global
        .offset:         72
        .size:           8
        .value_kind:     global_buffer
      - .actual_access:  read_only
        .address_space:  global
        .offset:         80
        .size:           8
        .value_kind:     global_buffer
      - .actual_access:  read_only
        .address_space:  global
        .offset:         88
        .size:           8
        .value_kind:     global_buffer
      - .actual_access:  write_only
        .address_space:  global
        .offset:         96
        .size:           8
        .value_kind:     global_buffer
    .group_segment_fixed_size: 0
    .kernarg_segment_align: 8
    .kernarg_segment_size: 104
    .language:       OpenCL C
    .language_version:
      - 2
      - 0
    .max_flat_workgroup_size: 128
    .name:           fft_rtc_back_len2560_factors_4_4_4_10_4_wgs_128_tpt_128_halfLds_half_op_CI_CI_unitstride_sbrr_C2R_dirReg
    .private_segment_fixed_size: 0
    .sgpr_count:     32
    .sgpr_spill_count: 0
    .symbol:         fft_rtc_back_len2560_factors_4_4_4_10_4_wgs_128_tpt_128_halfLds_half_op_CI_CI_unitstride_sbrr_C2R_dirReg.kd
    .uniform_work_group_size: 1
    .uses_dynamic_stack: false
    .vgpr_count:     62
    .vgpr_spill_count: 0
    .wavefront_size: 64
amdhsa.target:   amdgcn-amd-amdhsa--gfx906
amdhsa.version:
  - 1
  - 2
...

	.end_amdgpu_metadata
